;; amdgpu-corpus repo=zjin-lcf/HeCBench kind=compiled arch=gfx1250 opt=O3
	.amdgcn_target "amdgcn-amd-amdhsa--gfx1250"
	.amdhsa_code_object_version 6
	.section	.text._ZL14largeNetKernelILi12ELi64EEvPKiS1_S1_PiS2_S2_P4edgeiS2_,"axG",@progbits,_ZL14largeNetKernelILi12ELi64EEvPKiS1_S1_PiS2_S2_P4edgeiS2_,comdat
	.globl	_ZL14largeNetKernelILi12ELi64EEvPKiS1_S1_PiS2_S2_P4edgeiS2_ ; -- Begin function _ZL14largeNetKernelILi12ELi64EEvPKiS1_S1_PiS2_S2_P4edgeiS2_
	.p2align	8
	.type	_ZL14largeNetKernelILi12ELi64EEvPKiS1_S1_PiS2_S2_P4edgeiS2_,@function
_ZL14largeNetKernelILi12ELi64EEvPKiS1_S1_PiS2_S2_P4edgeiS2_: ; @_ZL14largeNetKernelILi12ELi64EEvPKiS1_S1_PiS2_S2_P4edgeiS2_
; %bb.0:
	v_dual_lshrrev_b32 v2, 5, v0 :: v_dual_bitop2_b32 v5, 31, v0 bitop3:0x40
	s_clause 0x3
	s_load_b64 s[20:21], s[0:1], 0x40
	s_load_b256 s[4:11], s[0:1], 0x0
	s_load_b128 s[12:15], s[0:1], 0x20
	s_load_b96 s[16:18], s[0:1], 0x30
	v_dual_mov_b32 v26, 8 :: v_dual_lshlrev_b32 v8, 8, v2
	v_lshlrev_b64_e64 v[6:7], v5, -1
	v_dual_lshlrev_b32 v7, 7, v2 :: v_dual_lshlrev_b32 v32, 10, v2
	v_lshl_or_b32 v29, v2, 2, 0x5400
	s_delay_alu instid0(VALU_DEP_4)
	v_or_b32_e32 v27, 0x3000, v8
	v_dual_mov_b32 v40, 1 :: v_dual_add_nc_u32 v31, 0x3c00, v8
	v_not_b32_e32 v4, v6
	v_or_b32_e32 v28, 0x4800, v7
	v_dual_mov_b32 v39, -1 :: v_dual_add_nc_u32 v30, 0x4e00, v7
	v_perm_b32 v2, v5, v5, 0x5040100
	v_or_b32_e32 v6, 64, v5
	v_or_b32_e32 v7, 0x60, v5
	;; [unrolled: 1-line block ×3, first 2 shown]
	v_lshl_or_b32 v8, v5, 2, v8
	v_dual_mov_b32 v3, 0 :: v_dual_mov_b32 v1, 4
	s_wait_xcnt 0x0
	v_cmp_eq_u32_e64 s0, 0, v5
	v_cmp_gt_u32_e64 s1, 3, v5
	v_bitop3_b32 v33, v0, 31, v0 bitop3:0x3f
	v_perm_b32 v35, 3, v5, 0x5040100
	v_or_b32_e32 v36, 0x200000, v2
	v_perm_b32 v7, v7, v6, 0x5040100
	v_perm_b32 v6, v34, v5, 0x5040100
	v_add_nc_u32_e32 v37, 0x3c00, v8
	v_bfrev_b32_e32 v38, -2
	v_mov_b32_e32 v41, 0x10000
	s_mov_b32 s19, 0
	s_get_pc_i64 s[22:23]
	s_add_nc_u64 s[22:23], s[22:23], _ZL8currpos1@rel64+4
	s_get_pc_i64 s[24:25]
	s_add_nc_u64 s[24:25], s[24:25], _ZL6wlsize@rel64+4
                                        ; implicit-def: $vgpr8
	s_branch .LBB0_4
.LBB0_1:                                ;   in Loop: Header=BB0_4 Depth=1
	s_wait_xcnt 0x0
	s_or_b32 exec_lo, exec_lo, s3
.LBB0_2:                                ;   in Loop: Header=BB0_4 Depth=1
	s_delay_alu instid0(SALU_CYCLE_1) | instskip(NEXT) | instid1(SALU_CYCLE_1)
	s_or_b32 exec_lo, exec_lo, s2
	s_xor_b32 s2, exec_lo, -1
.LBB0_3:                                ;   in Loop: Header=BB0_4 Depth=1
	s_or_b32 exec_lo, exec_lo, s26
	s_delay_alu instid0(SALU_CYCLE_1) | instskip(NEXT) | instid1(SALU_CYCLE_1)
	s_and_b32 s2, exec_lo, s2
	s_or_b32 s19, s2, s19
	s_delay_alu instid0(SALU_CYCLE_1)
	s_and_not1_b32 exec_lo, exec_lo, s19
	s_cbranch_execz .LBB0_114
.LBB0_4:                                ; =>This Loop Header: Depth=1
                                        ;     Child Loop BB0_13 Depth 2
                                        ;     Child Loop BB0_15 Depth 2
	;; [unrolled: 1-line block ×3, first 2 shown]
                                        ;       Child Loop BB0_41 Depth 3
                                        ;       Child Loop BB0_46 Depth 3
	;; [unrolled: 1-line block ×5, first 2 shown]
                                        ;         Child Loop BB0_64 Depth 4
                                        ;       Child Loop BB0_70 Depth 3
                                        ;       Child Loop BB0_75 Depth 3
	;; [unrolled: 1-line block ×3, first 2 shown]
                                        ;         Child Loop BB0_85 Depth 4
                                        ;           Child Loop BB0_90 Depth 5
                                        ;       Child Loop BB0_97 Depth 3
	s_and_saveexec_b32 s2, s0
	s_cbranch_execz .LBB0_8
; %bb.5:                                ;   in Loop: Header=BB0_4 Depth=1
	s_mov_b32 s26, exec_lo
	s_mov_b32 s3, exec_lo
	v_mbcnt_lo_u32_b32 v2, s26, 0
                                        ; implicit-def: $vgpr8
	s_delay_alu instid0(VALU_DEP_1)
	v_cmpx_eq_u32_e32 0, v2
	s_cbranch_execz .LBB0_7
; %bb.6:                                ;   in Loop: Header=BB0_4 Depth=1
	s_bcnt1_i32_b32 s26, s26
	s_delay_alu instid0(SALU_CYCLE_1)
	v_mov_b32_e32 v8, s26
	global_atomic_add_u32 v8, v3, v8, s[22:23] th:TH_ATOMIC_RETURN scope:SCOPE_DEV
.LBB0_7:                                ;   in Loop: Header=BB0_4 Depth=1
	s_wait_xcnt 0x0
	s_or_b32 exec_lo, exec_lo, s3
	s_wait_loadcnt 0x0
	v_readfirstlane_b32 s3, v8
	s_delay_alu instid0(VALU_DEP_1)
	v_add_nc_u32_e32 v8, s3, v2
.LBB0_8:                                ;   in Loop: Header=BB0_4 Depth=1
	s_or_b32 exec_lo, exec_lo, s2
	ds_bpermute_b32 v8, v3, v8
	s_mov_b32 s2, -1
	s_mov_b32 s26, exec_lo
	s_wait_dscnt 0x0
	s_wait_kmcnt 0x0
	v_cmpx_gt_i32_e64 s18, v8
	s_cbranch_execz .LBB0_3
; %bb.9:                                ;   in Loop: Header=BB0_4 Depth=1
	v_ashrrev_i32_e32 v9, 31, v8
	s_delay_alu instid0(VALU_DEP_1)
	v_lshl_add_u64 v[10:11], v[8:9], 2, s[4:5]
	global_load_b64 v[12:13], v[10:11], off
	s_wait_loadcnt 0x0
	s_wait_xcnt 0x0
	v_lshlrev_b32_e32 v10, 1, v12
	s_and_saveexec_b32 s2, s0
	s_cbranch_execz .LBB0_11
; %bb.10:                               ;   in Loop: Header=BB0_4 Depth=1
	v_lshl_add_u64 v[14:15], v[8:9], 2, s[10:11]
	global_store_b32 v[14:15], v10, off
.LBB0_11:                               ;   in Loop: Header=BB0_4 Depth=1
	s_wait_xcnt 0x0
	s_or_b32 exec_lo, exec_lo, s2
	v_sub_nc_u32_e32 v9, v13, v12
	s_mov_b32 s2, exec_lo
	s_delay_alu instid0(VALU_DEP_1) | instskip(NEXT) | instid1(VALU_DEP_1)
	v_bfe_i32 v2, v9, 0, 16
	v_cmpx_lt_i32_e64 v5, v2
	s_cbranch_execz .LBB0_16
; %bb.12:                               ;   in Loop: Header=BB0_4 Depth=1
	v_mov_b32_e32 v11, v5
	s_mov_b32 s3, 0
.LBB0_13:                               ;   Parent Loop BB0_4 Depth=1
                                        ; =>  This Inner Loop Header: Depth=2
	s_delay_alu instid0(VALU_DEP_1) | instskip(SKIP_1) | instid1(VALU_DEP_1)
	v_add_nc_u32_e32 v13, v11, v12
	v_lshl_add_u32 v11, v11, 16, 0x200000
	v_ashrrev_i32_e32 v11, 16, v11
	global_load_b32 v14, v13, s[6:7] scale_offset
	s_wait_xcnt 0x0
	v_add_nc_u32_e32 v13, v13, v12
	v_cmp_ge_i32_e32 vcc_lo, v11, v2
	s_or_b32 s3, vcc_lo, s3
	s_wait_loadcnt 0x0
	global_store_b32 v13, v14, s[12:13] scale_offset
	s_wait_xcnt 0x0
	s_and_not1_b32 exec_lo, exec_lo, s3
	s_cbranch_execnz .LBB0_13
; %bb.14:                               ;   in Loop: Header=BB0_4 Depth=1
	s_or_b32 exec_lo, exec_lo, s3
	v_mov_b32_e32 v11, v5
	s_mov_b32 s3, 0
.LBB0_15:                               ;   Parent Loop BB0_4 Depth=1
                                        ; =>  This Inner Loop Header: Depth=2
	s_delay_alu instid0(VALU_DEP_1) | instskip(SKIP_1) | instid1(VALU_DEP_1)
	v_add_nc_u32_e32 v13, v11, v12
	v_lshl_add_u32 v11, v11, 16, 0x200000
	v_ashrrev_i32_e32 v11, 16, v11
	global_load_b32 v14, v13, s[8:9] scale_offset
	s_wait_xcnt 0x0
	v_add_nc_u32_e32 v13, v13, v12
	v_cmp_ge_i32_e32 vcc_lo, v11, v2
	s_or_b32 s3, vcc_lo, s3
	s_wait_loadcnt 0x0
	global_store_b32 v13, v14, s[14:15] scale_offset
	s_wait_xcnt 0x0
	s_and_not1_b32 exec_lo, exec_lo, s3
	s_cbranch_execnz .LBB0_15
.LBB0_16:                               ;   in Loop: Header=BB0_4 Depth=1
	s_or_b32 exec_lo, exec_lo, s2
	v_lshlrev_b32_e32 v11, 16, v9
	s_mov_b32 s27, 0
	s_mov_b32 s3, 0
	s_mov_b32 s2, exec_lo
	s_delay_alu instid0(VALU_DEP_1)
	v_cmpx_lt_i32_e32 0x2ffff, v11
	s_xor_b32 s2, exec_lo, s2
	s_cbranch_execnz .LBB0_20
; %bb.17:                               ;   in Loop: Header=BB0_4 Depth=1
	s_and_not1_saveexec_b32 s2, s2
	s_cbranch_execnz .LBB0_27
.LBB0_18:                               ;   in Loop: Header=BB0_4 Depth=1
	s_or_b32 exec_lo, exec_lo, s2
	s_and_saveexec_b32 s2, s3
	s_delay_alu instid0(SALU_CYCLE_1)
	s_xor_b32 s28, exec_lo, s2
	s_cbranch_execnz .LBB0_28
.LBB0_19:                               ;   in Loop: Header=BB0_4 Depth=1
	s_or_b32 exec_lo, exec_lo, s28
	s_and_saveexec_b32 s2, s27
	s_delay_alu instid0(SALU_CYCLE_1)
	s_xor_b32 s2, exec_lo, s2
	s_cbranch_execz .LBB0_2
	s_branch .LBB0_112
.LBB0_20:                               ;   in Loop: Header=BB0_4 Depth=1
	s_mov_b32 s28, -1
	s_mov_b32 s3, exec_lo
	v_cmpx_eq_u32_e32 0x30000, v11
	s_cbranch_execz .LBB0_26
; %bb.21:                               ;   in Loop: Header=BB0_4 Depth=1
                                        ; implicit-def: $vgpr11
                                        ; implicit-def: $vgpr12
	s_and_saveexec_b32 s28, s1
	s_cbranch_execz .LBB0_23
; %bb.22:                               ;   in Loop: Header=BB0_4 Depth=1
	v_add_nc_u32_e32 v13, v10, v5
	s_clause 0x2
	global_load_b32 v12, v13, s[12:13] scale_offset
	global_load_b32 v11, v13, s[14:15] scale_offset
	global_store_b32 v13, v35, s[16:17] scale_offset
.LBB0_23:                               ;   in Loop: Header=BB0_4 Depth=1
	s_wait_xcnt 0x0
	s_or_b32 exec_lo, exec_lo, s28
	s_wait_loadcnt 0x1
	ds_bpermute_b32 v14, v1, v12
	s_wait_loadcnt 0x0
	ds_bpermute_b32 v13, v1, v11
	ds_bpermute_b32 v16, v26, v12
	ds_bpermute_b32 v15, v26, v11
	s_and_saveexec_b32 s28, s0
	s_delay_alu instid0(SALU_CYCLE_1)
	s_xor_b32 s28, exec_lo, s28
	s_cbranch_execz .LBB0_25
; %bb.24:                               ;   in Loop: Header=BB0_4 Depth=1
	s_wait_dscnt 0x1
	v_med3_i32 v12, v12, v14, v16
	s_wait_dscnt 0x0
	v_med3_i32 v11, v11, v13, v15
	s_clause 0x1
	global_store_b32 v10, v12, s[12:13] offset:12 scale_offset
	global_store_b32 v10, v11, s[14:15] offset:12 scale_offset
.LBB0_25:                               ;   in Loop: Header=BB0_4 Depth=1
	s_wait_xcnt 0x0
	s_or_b32 exec_lo, exec_lo, s28
	s_delay_alu instid0(SALU_CYCLE_1)
	s_xor_b32 s28, exec_lo, -1
.LBB0_26:                               ;   in Loop: Header=BB0_4 Depth=1
	s_or_b32 exec_lo, exec_lo, s3
	s_delay_alu instid0(SALU_CYCLE_1)
	s_and_b32 s3, s28, exec_lo
                                        ; implicit-def: $vgpr11
	s_and_not1_saveexec_b32 s2, s2
	s_cbranch_execz .LBB0_18
.LBB0_27:                               ;   in Loop: Header=BB0_4 Depth=1
	v_cmp_ne_u32_e32 vcc_lo, 0x20000, v11
	s_and_not1_b32 s3, s3, exec_lo
	s_mov_b32 s27, exec_lo
	s_and_b32 s28, vcc_lo, exec_lo
	s_delay_alu instid0(SALU_CYCLE_1) | instskip(SKIP_2) | instid1(SALU_CYCLE_1)
	s_or_b32 s3, s3, s28
	s_or_b32 exec_lo, exec_lo, s2
	s_and_saveexec_b32 s2, s3
	s_xor_b32 s28, exec_lo, s2
	s_cbranch_execz .LBB0_19
.LBB0_28:                               ;   in Loop: Header=BB0_4 Depth=1
	s_mov_b32 s2, exec_lo
	v_cmpx_lt_i32_e32 32, v2
	s_xor_b32 s2, exec_lo, s2
	s_cbranch_execz .LBB0_34
; %bb.29:                               ;   in Loop: Header=BB0_4 Depth=1
	s_and_saveexec_b32 s3, s0
	s_cbranch_execz .LBB0_33
; %bb.30:                               ;   in Loop: Header=BB0_4 Depth=1
	s_mov_b32 s30, exec_lo
	s_mov_b32 s29, exec_lo
	v_mbcnt_lo_u32_b32 v2, s30, 0
                                        ; implicit-def: $vgpr9
	s_delay_alu instid0(VALU_DEP_1)
	v_cmpx_eq_u32_e32 0, v2
	s_cbranch_execz .LBB0_32
; %bb.31:                               ;   in Loop: Header=BB0_4 Depth=1
	s_bcnt1_i32_b32 s30, s30
	s_delay_alu instid0(SALU_CYCLE_1)
	v_mov_b32_e32 v9, s30
	global_atomic_add_u32 v9, v3, v9, s[24:25] th:TH_ATOMIC_RETURN scope:SCOPE_DEV
.LBB0_32:                               ;   in Loop: Header=BB0_4 Depth=1
	s_wait_xcnt 0x0
	s_or_b32 exec_lo, exec_lo, s29
	s_wait_loadcnt 0x0
	v_readfirstlane_b32 s29, v9
	s_delay_alu instid0(VALU_DEP_1)
	v_add_nc_u32_e32 v2, s29, v2
	global_store_b32 v2, v8, s[20:21] scale_offset
.LBB0_33:                               ;   in Loop: Header=BB0_4 Depth=1
	s_wait_xcnt 0x0
	s_or_b32 exec_lo, exec_lo, s3
                                        ; implicit-def: $vgpr9
.LBB0_34:                               ;   in Loop: Header=BB0_4 Depth=1
	s_and_not1_saveexec_b32 s29, s2
	s_cbranch_execz .LBB0_111
; %bb.35:                               ;   in Loop: Header=BB0_4 Depth=1
	v_ashrrev_i32_e32 v11, 31, v10
	s_wait_dscnt 0x1
	s_delay_alu instid0(VALU_DEP_1) | instskip(NEXT) | instid1(VALU_DEP_1)
	v_lshlrev_b64_e32 v[16:17], 2, v[10:11]
	v_add_nc_u64_e32 v[12:13], s[12:13], v[16:17]
	s_wait_dscnt 0x0
	v_add_nc_u64_e32 v[14:15], s[14:15], v[16:17]
	v_add_nc_u64_e32 v[16:17], s[16:17], v[16:17]
	s_branch .LBB0_37
.LBB0_36:                               ;   in Loop: Header=BB0_37 Depth=2
	v_cndmask_b32_e64 v2, 0, 1, s3
	s_delay_alu instid0(VALU_DEP_1)
	v_cmp_ne_u32_e32 vcc_lo, 0, v2
	s_cbranch_vccz .LBB0_111
.LBB0_37:                               ;   Parent Loop BB0_4 Depth=1
                                        ; =>  This Loop Header: Depth=2
                                        ;       Child Loop BB0_41 Depth 3
                                        ;       Child Loop BB0_46 Depth 3
	;; [unrolled: 1-line block ×5, first 2 shown]
                                        ;         Child Loop BB0_64 Depth 4
                                        ;       Child Loop BB0_70 Depth 3
                                        ;       Child Loop BB0_75 Depth 3
	;; [unrolled: 1-line block ×3, first 2 shown]
                                        ;         Child Loop BB0_85 Depth 4
                                        ;           Child Loop BB0_90 Depth 5
                                        ;       Child Loop BB0_97 Depth 3
	v_bfe_i32 v2, v9, 0, 16
	s_mov_b32 s30, exec_lo
	s_delay_alu instid0(VALU_DEP_1) | instskip(NEXT) | instid1(VALU_DEP_1)
	v_add_nc_u32_e32 v11, -1, v2
	v_bfe_i32 v20, v11, 0, 16
	s_delay_alu instid0(VALU_DEP_1)
	v_cmpx_gt_i32_e64 v20, v5
	s_cbranch_execz .LBB0_56
; %bb.38:                               ;   in Loop: Header=BB0_37 Depth=2
	v_add_nc_u32_e32 v18, v20, v33
	s_mov_b32 s33, exec_lo
	s_wait_dscnt 0x0
	s_delay_alu instid0(VALU_DEP_1) | instskip(SKIP_1) | instid1(VALU_DEP_1)
	v_dual_mov_b32 v23, v5 :: v_dual_lshrrev_b32 v19, 5, v18
	s_wait_loadcnt 0x0
	v_add_nc_u32_e32 v21, 1, v19
	v_cmp_gt_u32_e64 s31, 0x1a0, v18
	v_lshlrev_b16 v22, 5, v19
	v_cmpx_lt_u32_e32 0x19f, v18
	s_cbranch_execz .LBB0_44
; %bb.39:                               ;   in Loop: Header=BB0_37 Depth=2
	s_delay_alu instid0(VALU_DEP_2) | instskip(SKIP_2) | instid1(VALU_DEP_3)
	v_add_nc_u16 v23, v34, v22
	v_cmp_gt_u16_e32 vcc_lo, 0x800, v19
	v_cmp_gt_u32_e64 s2, 0x200000, v18
	v_cmp_ge_i16_e64 s3, v23, v34
	v_mov_b32_e32 v23, v5
	s_and_b32 s2, vcc_lo, s2
	s_delay_alu instid0(SALU_CYCLE_1)
	s_and_b32 s34, s2, s3
	s_mov_b32 s3, -1
	s_and_saveexec_b32 s2, s34
	s_cbranch_execz .LBB0_43
; %bb.40:                               ;   in Loop: Header=BB0_37 Depth=2
	v_and_b32_e32 v23, 0xffffffe, v21
	s_mov_b32 s3, 0
	s_delay_alu instid0(VALU_DEP_1)
	v_dual_mov_b32 v25, v36 :: v_dual_mov_b32 v24, v23
.LBB0_41:                               ;   Parent Loop BB0_4 Depth=1
                                        ;     Parent Loop BB0_37 Depth=2
                                        ; =>    This Inner Loop Header: Depth=3
	s_delay_alu instid0(VALU_DEP_1) | instskip(SKIP_2) | instid1(VALU_DEP_3)
	v_dual_add_nc_u32 v24, -2, v24 :: v_dual_ashrrev_i32 v43, 16, v25
	v_bfe_i32 v42, v25, 0, 16
	v_pk_add_u16 v25, v25, 64 op_sel_hi:[1,0]
	v_cmp_eq_u32_e32 vcc_lo, 0, v24
	s_delay_alu instid0(VALU_DEP_4) | instskip(NEXT) | instid1(VALU_DEP_4)
	v_lshl_add_u32 v43, v43, 2, v27
	v_lshl_add_u32 v42, v42, 2, v27
	ds_store_b32 v42, v38
	ds_store_b32 v43, v38
	s_or_b32 s3, vcc_lo, s3
	s_delay_alu instid0(SALU_CYCLE_1)
	s_and_not1_b32 exec_lo, exec_lo, s3
	s_cbranch_execnz .LBB0_41
; %bb.42:                               ;   in Loop: Header=BB0_37 Depth=2
	s_or_b32 exec_lo, exec_lo, s3
	v_lshlrev_b16 v24, 5, v23
	v_cmp_ne_u32_e32 vcc_lo, v21, v23
	s_delay_alu instid0(VALU_DEP_2)
	v_or_b32_e32 v23, v24, v5
	s_or_not1_b32 s3, vcc_lo, exec_lo
.LBB0_43:                               ;   in Loop: Header=BB0_37 Depth=2
	s_or_b32 exec_lo, exec_lo, s2
	s_delay_alu instid0(SALU_CYCLE_1) | instskip(SKIP_1) | instid1(SALU_CYCLE_1)
	s_and_not1_b32 s2, s31, exec_lo
	s_and_b32 s3, s3, exec_lo
	s_or_b32 s31, s2, s3
.LBB0_44:                               ;   in Loop: Header=BB0_37 Depth=2
	s_or_b32 exec_lo, exec_lo, s33
	s_and_saveexec_b32 s2, s31
	s_cbranch_execz .LBB0_47
; %bb.45:                               ;   in Loop: Header=BB0_37 Depth=2
	s_mov_b32 s3, 0
.LBB0_46:                               ;   Parent Loop BB0_4 Depth=1
                                        ;     Parent Loop BB0_37 Depth=2
                                        ; =>    This Inner Loop Header: Depth=3
	v_bfe_i32 v24, v23, 0, 16
	v_add_nc_u16 v23, v23, 32
	s_delay_alu instid0(VALU_DEP_2) | instskip(NEXT) | instid1(VALU_DEP_2)
	v_lshl_add_u32 v24, v24, 2, v27
	v_bfe_i32 v25, v23, 0, 16
	ds_store_b32 v24, v38
	v_cmp_le_i32_e32 vcc_lo, v20, v25
	s_or_b32 s3, vcc_lo, s3
	s_delay_alu instid0(SALU_CYCLE_1)
	s_and_not1_b32 exec_lo, exec_lo, s3
	s_cbranch_execnz .LBB0_46
.LBB0_47:                               ;   in Loop: Header=BB0_37 Depth=2
	s_or_b32 exec_lo, exec_lo, s2
	v_cmp_gt_u32_e64 s31, 0x160, v18
	v_mov_b32_e32 v23, v5
	s_mov_b32 s33, exec_lo
	v_cmpx_lt_u32_e32 0x15f, v18
	s_cbranch_execz .LBB0_53
; %bb.48:                               ;   in Loop: Header=BB0_37 Depth=2
	v_add_nc_u16 v22, v34, v22
	v_cmp_gt_u16_e32 vcc_lo, 0x800, v19
	v_cmp_gt_u32_e64 s2, 0x200000, v18
	v_mov_b32_e32 v23, v5
	s_delay_alu instid0(VALU_DEP_4) | instskip(SKIP_1) | instid1(SALU_CYCLE_1)
	v_cmp_ge_i16_e64 s3, v22, v34
	s_and_b32 s2, vcc_lo, s2
	s_and_b32 s34, s2, s3
	s_mov_b32 s3, -1
	s_and_saveexec_b32 s2, s34
	s_cbranch_execz .LBB0_52
; %bb.49:                               ;   in Loop: Header=BB0_37 Depth=2
	v_and_b32_e32 v22, 0xffffffc, v21
	v_mov_b64_e32 v[18:19], v[6:7]
	s_mov_b32 s3, 0
	s_delay_alu instid0(VALU_DEP_2)
	v_mov_b32_e32 v23, v22
.LBB0_50:                               ;   Parent Loop BB0_4 Depth=1
                                        ;     Parent Loop BB0_37 Depth=2
                                        ; =>    This Inner Loop Header: Depth=3
	s_delay_alu instid0(VALU_DEP_1) | instskip(NEXT) | instid1(VALU_DEP_3)
	v_add_nc_u32_e32 v23, -4, v23
	v_bfe_i32 v44, v18, 0, 16
	s_delay_alu instid0(VALU_DEP_4) | instskip(SKIP_1) | instid1(VALU_DEP_4)
	v_bfe_i32 v45, v19, 0, 16
	v_dual_ashrrev_i32 v42, 16, v19 :: v_dual_ashrrev_i32 v43, 16, v18
	v_cmp_eq_u32_e32 vcc_lo, 0, v23
	v_pk_add_u16 v24, v19, 1 op_sel_hi:[1,0]
	v_pk_add_u16 v25, v18, 1 op_sel_hi:[1,0]
	;; [unrolled: 1-line block ×4, first 2 shown]
	v_lshl_add_u32 v44, v44, 1, v28
	v_lshl_add_u32 v45, v45, 1, v28
	;; [unrolled: 1-line block ×4, first 2 shown]
	s_or_b32 s3, vcc_lo, s3
	ds_store_b16 v44, v25
	ds_store_b16_d16_hi v43, v25
	ds_store_b16 v45, v24
	ds_store_b16_d16_hi v42, v24
	s_and_not1_b32 exec_lo, exec_lo, s3
	s_cbranch_execnz .LBB0_50
; %bb.51:                               ;   in Loop: Header=BB0_37 Depth=2
	s_or_b32 exec_lo, exec_lo, s3
	v_lshlrev_b16 v18, 5, v22
	v_cmp_ne_u32_e32 vcc_lo, v21, v22
	s_delay_alu instid0(VALU_DEP_2)
	v_or_b32_e32 v23, v18, v5
	s_or_not1_b32 s3, vcc_lo, exec_lo
.LBB0_52:                               ;   in Loop: Header=BB0_37 Depth=2
	s_or_b32 exec_lo, exec_lo, s2
	s_delay_alu instid0(SALU_CYCLE_1) | instskip(SKIP_1) | instid1(SALU_CYCLE_1)
	s_and_not1_b32 s2, s31, exec_lo
	s_and_b32 s3, s3, exec_lo
	s_or_b32 s31, s2, s3
.LBB0_53:                               ;   in Loop: Header=BB0_37 Depth=2
	s_or_b32 exec_lo, exec_lo, s33
	s_delay_alu instid0(SALU_CYCLE_1)
	s_and_b32 exec_lo, exec_lo, s31
	s_cbranch_execz .LBB0_56
; %bb.54:                               ;   in Loop: Header=BB0_37 Depth=2
	s_mov_b32 s2, 0
.LBB0_55:                               ;   Parent Loop BB0_4 Depth=1
                                        ;     Parent Loop BB0_37 Depth=2
                                        ; =>    This Inner Loop Header: Depth=3
	v_add_nc_u16 v18, v23, 1
	v_bfe_i32 v19, v23, 0, 16
	v_add_nc_u16 v23, v23, 32
	s_delay_alu instid0(VALU_DEP_2) | instskip(NEXT) | instid1(VALU_DEP_2)
	v_lshl_add_u32 v19, v19, 1, v28
	v_bfe_i32 v21, v23, 0, 16
	ds_store_b16 v19, v18
	v_cmp_le_i32_e32 vcc_lo, v20, v21
	s_or_b32 s2, vcc_lo, s2
	s_delay_alu instid0(SALU_CYCLE_1)
	s_and_not1_b32 exec_lo, exec_lo, s2
	s_cbranch_execnz .LBB0_55
.LBB0_56:                               ;   in Loop: Header=BB0_37 Depth=2
	s_or_b32 exec_lo, exec_lo, s30
	s_delay_alu instid0(SALU_CYCLE_1)
	s_mov_b32 s2, exec_lo
	v_cmpx_lt_i16_e32 1, v9
	s_cbranch_execz .LBB0_68
; %bb.57:                               ;   in Loop: Header=BB0_37 Depth=2
	s_wait_dscnt 0x0
	v_dual_mov_b32 v19, 0 :: v_dual_mov_b32 v18, v11
	s_mov_b32 s3, 0
	s_mov_b32 s30, 0
	s_branch .LBB0_59
.LBB0_58:                               ;   in Loop: Header=BB0_59 Depth=3
	s_wait_xcnt 0x0
	s_or_b32 exec_lo, exec_lo, s31
	s_add_co_i32 s30, s30, 1
	s_delay_alu instid0(SALU_CYCLE_1) | instskip(NEXT) | instid1(SALU_CYCLE_1)
	s_sext_i32_i16 s31, s30
	v_cmp_ge_i32_e32 vcc_lo, s31, v11
	s_or_b32 s3, vcc_lo, s3
	s_delay_alu instid0(SALU_CYCLE_1)
	s_and_not1_b32 exec_lo, exec_lo, s3
	s_cbranch_execz .LBB0_68
.LBB0_59:                               ;   Parent Loop BB0_4 Depth=1
                                        ;     Parent Loop BB0_37 Depth=2
                                        ; =>    This Loop Header: Depth=3
                                        ;         Child Loop BB0_64 Depth 4
	s_and_saveexec_b32 s31, s0
; %bb.60:                               ;   in Loop: Header=BB0_59 Depth=3
	ds_store_b32 v29, v38
; %bb.61:                               ;   in Loop: Header=BB0_59 Depth=3
	s_or_b32 exec_lo, exec_lo, s31
	s_delay_alu instid0(SALU_CYCLE_1)
	s_mov_b32 s31, exec_lo
	v_cmpx_gt_i16_e64 v18, v5
	s_cbranch_execz .LBB0_66
; %bb.62:                               ;   in Loop: Header=BB0_59 Depth=3
	s_wait_dscnt 0x0
	v_bfe_i32 v20, v19, 0, 16
	s_mov_b32 s33, 0
	s_wait_loadcnt 0x0
	s_delay_alu instid0(VALU_DEP_1) | instskip(NEXT) | instid1(VALU_DEP_1)
	v_ashrrev_i32_e32 v21, 31, v20
	v_lshlrev_b64_e32 v[20:21], 2, v[20:21]
	s_delay_alu instid0(VALU_DEP_1)
	v_add_nc_u64_e32 v[22:23], v[12:13], v[20:21]
	v_add_nc_u64_e32 v[24:25], v[14:15], v[20:21]
	global_load_b32 v20, v[22:23], off
	global_load_b32 v21, v[24:25], off
	s_wait_xcnt 0x1
	v_dual_mov_b32 v22, v5 :: v_dual_mov_b32 v23, v5
	s_branch .LBB0_64
.LBB0_63:                               ;   in Loop: Header=BB0_64 Depth=4
	s_or_b32 exec_lo, exec_lo, s34
	v_lshl_add_u32 v22, v25, 9, v22
	v_add_nc_u16 v23, v23, 32
	ds_min_i32 v29, v22
	v_cmp_ge_i16_e32 vcc_lo, v23, v18
	v_bfe_i32 v22, v23, 0, 16
	s_or_b32 s33, vcc_lo, s33
	s_delay_alu instid0(SALU_CYCLE_1)
	s_and_not1_b32 exec_lo, exec_lo, s33
	s_cbranch_execz .LBB0_66
.LBB0_64:                               ;   Parent Loop BB0_4 Depth=1
                                        ;     Parent Loop BB0_37 Depth=2
                                        ;       Parent Loop BB0_59 Depth=3
                                        ; =>      This Inner Loop Header: Depth=4
	s_delay_alu instid0(VALU_DEP_1) | instskip(SKIP_2) | instid1(VALU_DEP_1)
	v_bfe_i32 v23, v23, 0, 16
	s_mov_b32 s34, exec_lo
	s_wait_xcnt 0x0
	v_lshl_add_u32 v24, v23, 1, v28
	ds_load_u16 v42, v24
	v_lshl_add_u32 v24, v23, 2, v27
	ds_load_b32 v25, v24
	s_wait_dscnt 0x1
	v_bfe_i32 v42, v42, 0, 16
	s_delay_alu instid0(VALU_DEP_1) | instskip(NEXT) | instid1(VALU_DEP_1)
	v_ashrrev_i32_e32 v43, 31, v42
	v_lshlrev_b64_e32 v[42:43], 2, v[42:43]
	s_delay_alu instid0(VALU_DEP_1)
	v_add_nc_u64_e32 v[44:45], v[12:13], v[42:43]
	v_add_nc_u64_e32 v[42:43], v[14:15], v[42:43]
	global_load_b32 v46, v[44:45], off
	global_load_b32 v47, v[42:43], off
	s_wait_loadcnt 0x0
	s_wait_xcnt 0x0
	v_dual_sub_nc_u32 v42, v20, v46 :: v_dual_sub_nc_u32 v43, v21, v47
	s_delay_alu instid0(VALU_DEP_1) | instskip(NEXT) | instid1(VALU_DEP_1)
	v_dual_sub_nc_u32 v44, 0, v42 :: v_dual_sub_nc_u32 v45, 0, v43
	v_max_i32_e32 v42, v42, v44
	s_delay_alu instid0(VALU_DEP_2) | instskip(NEXT) | instid1(VALU_DEP_1)
	v_max_i32_e32 v43, v43, v45
	v_add_nc_u32_e32 v42, v43, v42
	s_wait_dscnt 0x0
	s_delay_alu instid0(VALU_DEP_1)
	v_cmpx_gt_i32_e64 v25, v42
	s_cbranch_execz .LBB0_63
; %bb.65:                               ;   in Loop: Header=BB0_64 Depth=4
	v_mov_b32_e32 v25, v42
	v_lshl_add_u32 v43, v23, 1, v30
	ds_store_b32 v24, v42
	ds_store_b16 v43, v19
	s_branch .LBB0_63
.LBB0_66:                               ;   in Loop: Header=BB0_59 Depth=3
	s_or_b32 exec_lo, exec_lo, s31
	s_wait_dscnt 0x0
	ds_load_b32 v19, v29
	v_add_nc_u16 v18, v18, -1
	s_wait_dscnt 0x0
	v_ashrrev_i32_e32 v20, 31, v19
	s_delay_alu instid0(VALU_DEP_1) | instskip(NEXT) | instid1(VALU_DEP_1)
	v_lshrrev_b32_e32 v20, 23, v20
	v_add_nc_u32_e32 v20, v19, v20
	s_delay_alu instid0(VALU_DEP_1) | instskip(NEXT) | instid1(VALU_DEP_1)
	v_and_b32_e32 v20, 0xfe00, v20
	v_sub_nc_u32_e32 v19, v19, v20
	s_wait_loadcnt 0x0
	s_delay_alu instid0(VALU_DEP_1) | instskip(NEXT) | instid1(VALU_DEP_1)
	v_bfe_i32 v21, v19, 0, 16
	v_lshl_add_u32 v20, v21, 1, v28
	ds_load_u16 v19, v20
	s_and_saveexec_b32 s31, s0
	s_cbranch_execz .LBB0_58
; %bb.67:                               ;   in Loop: Header=BB0_59 Depth=3
	v_bfe_i32 v22, v18, 0, 16
	v_lshl_add_u32 v24, v21, 1, v30
	s_sext_i32_i16 s34, s30
	v_lshl_add_u32 v21, v21, 2, v27
	s_ashr_i32 s35, s34, 31
	v_lshlrev_b32_e32 v23, 1, v22
	ds_load_u16 v25, v24
	v_lshl_add_u32 v22, v22, 2, v27
	v_dual_add_nc_u32 v42, v30, v23 :: v_dual_add_nc_u32 v23, v28, v23
	ds_load_b32 v43, v22
	ds_load_u16 v42, v42
	ds_load_u16 v44, v23
	v_lshl_add_u64 v[22:23], s[34:35], 2, v[16:17]
	s_wait_dscnt 0x3
	v_perm_b32 v25, v19, v25, 0x5040100
	global_store_b32 v[22:23], v25, off
	s_wait_dscnt 0x2
	ds_store_b32 v21, v43
	s_wait_dscnt 0x2
	ds_store_b16 v24, v42
	s_wait_dscnt 0x2
	ds_store_b16 v20, v44
	s_branch .LBB0_58
.LBB0_68:                               ;   in Loop: Header=BB0_37 Depth=2
	s_or_b32 exec_lo, exec_lo, s2
	v_cmp_gt_i16_e32 vcc_lo, v9, v5
	s_and_saveexec_b32 s3, vcc_lo
	s_cbranch_execz .LBB0_72
; %bb.69:                               ;   in Loop: Header=BB0_37 Depth=2
	v_and_b32_e32 v2, 0xffff, v9
	v_dual_mov_b32 v11, v37 :: v_dual_mov_b32 v18, v5
	s_mov_b32 s30, 0
.LBB0_70:                               ;   Parent Loop BB0_4 Depth=1
                                        ;     Parent Loop BB0_37 Depth=2
                                        ; =>    This Inner Loop Header: Depth=3
	s_delay_alu instid0(VALU_DEP_1) | instskip(SKIP_4) | instid1(SALU_CYCLE_1)
	v_add_nc_u32_e32 v18, 32, v18
	ds_store_b32 v11, v3
	v_add_nc_u32_e32 v11, 0x80, v11
	v_cmp_ge_u32_e64 s2, v18, v2
	s_or_b32 s30, s2, s30
	s_and_not1_b32 exec_lo, exec_lo, s30
	s_cbranch_execnz .LBB0_70
; %bb.71:                               ;   in Loop: Header=BB0_37 Depth=2
	s_or_b32 exec_lo, exec_lo, s30
	v_add_nc_u32_e32 v11, -1, v2
.LBB0_72:                               ;   in Loop: Header=BB0_37 Depth=2
	s_or_b32 exec_lo, exec_lo, s3
	s_delay_alu instid0(SALU_CYCLE_1) | instskip(NEXT) | instid1(VALU_DEP_1)
	s_mov_b32 s3, exec_lo
	v_cmpx_gt_i32_e64 v11, v5
	s_cbranch_execz .LBB0_79
; %bb.73:                               ;   in Loop: Header=BB0_37 Depth=2
	v_mov_b32_e32 v22, v5
	s_mov_b32 s30, 0
	s_branch .LBB0_75
.LBB0_74:                               ;   in Loop: Header=BB0_75 Depth=3
	s_or_b32 exec_lo, exec_lo, s2
	v_add_nc_u16 v22, v22, 32
	s_delay_alu instid0(VALU_DEP_1) | instskip(NEXT) | instid1(VALU_DEP_1)
	v_bfe_i32 v18, v22, 0, 16
	v_cmp_le_i32_e64 s2, v11, v18
	s_or_b32 s30, s2, s30
	s_delay_alu instid0(SALU_CYCLE_1)
	s_and_not1_b32 exec_lo, exec_lo, s30
	s_cbranch_execz .LBB0_79
.LBB0_75:                               ;   Parent Loop BB0_4 Depth=1
                                        ;     Parent Loop BB0_37 Depth=2
                                        ; =>    This Inner Loop Header: Depth=3
	s_delay_alu instid0(VALU_DEP_1) | instskip(SKIP_1) | instid1(VALU_DEP_1)
	v_bfe_i32 v24, v22, 0, 16
	s_mov_b32 s33, exec_lo
	v_ashrrev_i32_e32 v25, 31, v24
	s_wait_dscnt 0x0
	s_delay_alu instid0(VALU_DEP_1)
	v_lshl_add_u64 v[18:19], v[24:25], 2, v[16:17]
	v_lshl_add_u32 v24, v24, 2, v27
	global_load_b32 v19, v[18:19], off
	s_wait_loadcnt 0x0
	s_wait_xcnt 0x0
	v_lshrrev_b32_e32 v18, 16, v19
	v_bfe_i32 v20, v19, 0, 16
	s_delay_alu instid0(VALU_DEP_2) | instskip(NEXT) | instid1(VALU_DEP_1)
	v_bfe_i32 v18, v18, 0, 16
	v_dual_ashrrev_i32 v21, 31, v20 :: v_dual_ashrrev_i32 v19, 31, v18
	s_delay_alu instid0(VALU_DEP_1) | instskip(NEXT) | instid1(VALU_DEP_2)
	v_lshl_add_u64 v[44:45], v[20:21], 2, v[12:13]
	v_lshl_add_u64 v[42:43], v[18:19], 2, v[12:13]
	s_clause 0x1
	global_load_b32 v23, v[42:43], off
	global_load_b32 v25, v[44:45], off
	ds_store_b32 v24, v39
	s_wait_loadcnt 0x0
	v_cmp_ne_u32_e64 s31, v23, v25
	s_wait_xcnt 0x0
	v_cmpx_eq_u32_e64 v23, v25
	s_cbranch_execz .LBB0_77
; %bb.76:                               ;   in Loop: Header=BB0_75 Depth=3
	v_lshl_add_u64 v[24:25], v[18:19], 2, v[14:15]
	v_lshl_add_u64 v[42:43], v[20:21], 2, v[14:15]
	s_and_not1_b32 s31, s31, exec_lo
	s_clause 0x1
	global_load_b32 v19, v[24:25], off
	global_load_b32 v21, v[42:43], off
	s_wait_loadcnt 0x0
	v_cmp_ne_u32_e64 s2, v19, v21
	s_and_b32 s2, s2, exec_lo
	s_delay_alu instid0(SALU_CYCLE_1)
	s_or_b32 s31, s31, s2
.LBB0_77:                               ;   in Loop: Header=BB0_75 Depth=3
	s_wait_xcnt 0x0
	s_or_b32 exec_lo, exec_lo, s33
	s_and_saveexec_b32 s2, s31
	s_cbranch_execz .LBB0_74
; %bb.78:                               ;   in Loop: Header=BB0_75 Depth=3
	v_lshl_add_u32 v19, v20, 2, v31
	ds_add_rtn_u32 v19, v19, v40
	s_wait_dscnt 0x0
	v_dual_lshlrev_b32 v20, 4, v20 :: v_dual_lshlrev_b32 v19, 1, v19
	s_delay_alu instid0(VALU_DEP_1)
	v_add3_u32 v19, v32, v20, v19
	v_lshl_add_u32 v20, v18, 2, v31
	ds_store_b16 v19, v22
	ds_add_rtn_u32 v19, v20, v40
	s_wait_dscnt 0x0
	v_dual_lshlrev_b32 v18, 4, v18 :: v_dual_lshlrev_b32 v19, 1, v19
	s_delay_alu instid0(VALU_DEP_1)
	v_add3_u32 v18, v32, v18, v19
	ds_store_b16 v18, v22
	s_branch .LBB0_74
.LBB0_79:                               ;   in Loop: Header=BB0_37 Depth=2
	s_or_b32 exec_lo, exec_lo, s3
	s_and_saveexec_b32 s2, vcc_lo
	s_cbranch_execz .LBB0_94
; %bb.80:                               ;   in Loop: Header=BB0_37 Depth=2
	v_mov_b32_e32 v11, v5
	s_mov_b32 s3, 0
	s_branch .LBB0_82
.LBB0_81:                               ;   in Loop: Header=BB0_82 Depth=3
	s_or_b32 exec_lo, exec_lo, s30
	v_add_nc_u16 v11, v18, 32
	s_delay_alu instid0(VALU_DEP_1) | instskip(SKIP_1) | instid1(SALU_CYCLE_1)
	v_cmp_ge_i16_e32 vcc_lo, v11, v9
	s_or_b32 s3, vcc_lo, s3
	s_and_not1_b32 exec_lo, exec_lo, s3
	s_cbranch_execz .LBB0_94
.LBB0_82:                               ;   Parent Loop BB0_4 Depth=1
                                        ;     Parent Loop BB0_37 Depth=2
                                        ; =>    This Loop Header: Depth=3
                                        ;         Child Loop BB0_85 Depth 4
                                        ;           Child Loop BB0_90 Depth 5
	s_delay_alu instid0(VALU_DEP_1) | instskip(SKIP_1) | instid1(VALU_DEP_1)
	v_bfe_i32 v18, v11, 0, 16
	s_mov_b32 s30, exec_lo
	v_lshl_add_u32 v11, v18, 2, v31
	ds_load_b32 v11, v11
	s_wait_dscnt 0x0
	v_cmpx_lt_i32_e32 1, v11
	s_cbranch_execz .LBB0_81
; %bb.83:                               ;   in Loop: Header=BB0_82 Depth=3
	v_dual_ashrrev_i32 v19, 31, v18 :: v_dual_add_nc_u32 v44, -1, v11
	v_lshl_add_u32 v43, v18, 4, v32
	s_mov_b32 s31, 0
	s_mov_b32 s33, 0
	s_wait_loadcnt 0x0
	v_lshlrev_b64_e32 v[20:21], 2, v[18:19]
	s_delay_alu instid0(VALU_DEP_1)
	v_add_nc_u64_e32 v[22:23], v[12:13], v[20:21]
	v_add_nc_u64_e32 v[20:21], v[14:15], v[20:21]
	global_load_b32 v19, v[22:23], off
	global_load_b32 v42, v[20:21], off
	s_branch .LBB0_85
.LBB0_84:                               ;   in Loop: Header=BB0_85 Depth=4
	s_or_b32 exec_lo, exec_lo, s35
	v_cmp_ge_i32_e32 vcc_lo, s34, v44
	s_or_b32 s33, vcc_lo, s33
	s_delay_alu instid0(SALU_CYCLE_1)
	s_and_not1_b32 exec_lo, exec_lo, s33
	s_cbranch_execz .LBB0_81
.LBB0_85:                               ;   Parent Loop BB0_4 Depth=1
                                        ;     Parent Loop BB0_37 Depth=2
                                        ;       Parent Loop BB0_82 Depth=3
                                        ; =>      This Loop Header: Depth=4
                                        ;           Child Loop BB0_90 Depth 5
	s_sext_i32_i8 s34, s31
	s_wait_xcnt 0x0
	v_lshl_add_u32 v20, s34, 1, v43
	s_mov_b32 s34, exec_lo
	ds_load_u16 v20, v20
	s_wait_dscnt 0x0
	v_bfe_i32 v20, v20, 0, 16
	s_wait_loadcnt 0x0
	s_delay_alu instid0(VALU_DEP_1) | instskip(NEXT) | instid1(VALU_DEP_1)
	v_ashrrev_i32_e32 v21, 31, v20
	v_lshl_add_u64 v[22:23], v[20:21], 2, v[16:17]
	global_load_u16 v21, v[22:23], off
	s_wait_loadcnt 0x0
	s_wait_xcnt 0x0
	v_cmpx_eq_u16_e64 v18, v21
	s_cbranch_execz .LBB0_87
; %bb.86:                               ;   in Loop: Header=BB0_85 Depth=4
	global_load_u16 v21, v[22:23], off offset:2
.LBB0_87:                               ;   in Loop: Header=BB0_85 Depth=4
	s_wait_xcnt 0x0
	s_or_b32 exec_lo, exec_lo, s34
	s_add_co_i32 s31, s31, 1
	s_mov_b32 s35, exec_lo
	s_sext_i32_i8 s34, s31
	s_delay_alu instid0(SALU_CYCLE_1)
	v_cmpx_lt_i32_e64 s34, v11
	s_cbranch_execz .LBB0_84
; %bb.88:                               ;   in Loop: Header=BB0_85 Depth=4
	s_wait_loadcnt 0x0
	v_bfe_i32 v22, v21, 0, 16
	v_lshl_add_u32 v48, v20, 2, v27
	s_mov_b32 s36, 0
	s_mov_b32 s37, s31
	s_delay_alu instid0(VALU_DEP_2) | instskip(NEXT) | instid1(VALU_DEP_1)
	v_ashrrev_i32_e32 v23, 31, v22
	v_lshlrev_b64_e32 v[22:23], 2, v[22:23]
	s_delay_alu instid0(VALU_DEP_1)
	v_add_nc_u64_e32 v[24:25], v[12:13], v[22:23]
	v_add_nc_u64_e32 v[22:23], v[14:15], v[22:23]
	global_load_b32 v45, v[24:25], off
	global_load_b32 v47, v[22:23], off
	s_wait_loadcnt 0x1
	v_min_i32_e32 v21, v19, v45
	v_max_i32_e32 v45, v19, v45
	s_wait_loadcnt 0x0
	v_min_i32_e32 v46, v42, v47
	v_max_i32_e32 v47, v42, v47
	s_branch .LBB0_90
.LBB0_89:                               ;   in Loop: Header=BB0_90 Depth=5
	s_or_b32 exec_lo, exec_lo, s38
	s_add_co_i32 s37, s37, 1
	s_delay_alu instid0(SALU_CYCLE_1) | instskip(NEXT) | instid1(SALU_CYCLE_1)
	s_sext_i32_i8 s38, s37
	v_cmp_ge_i32_e32 vcc_lo, s38, v11
	s_or_b32 s36, vcc_lo, s36
	s_delay_alu instid0(SALU_CYCLE_1)
	s_and_not1_b32 exec_lo, exec_lo, s36
	s_cbranch_execz .LBB0_84
.LBB0_90:                               ;   Parent Loop BB0_4 Depth=1
                                        ;     Parent Loop BB0_37 Depth=2
                                        ;       Parent Loop BB0_82 Depth=3
                                        ;         Parent Loop BB0_85 Depth=4
                                        ; =>        This Inner Loop Header: Depth=5
	s_sext_i32_i8 s38, s37
	s_wait_xcnt 0x0
	v_lshl_add_u32 v22, s38, 1, v43
	s_mov_b32 s38, exec_lo
	ds_load_u16 v22, v22
	s_wait_dscnt 0x0
	v_bfe_i32 v22, v22, 0, 16
	s_delay_alu instid0(VALU_DEP_1) | instskip(NEXT) | instid1(VALU_DEP_1)
	v_ashrrev_i32_e32 v23, 31, v22
	v_lshl_add_u64 v[24:25], v[22:23], 2, v[16:17]
	global_load_u16 v23, v[24:25], off
	s_wait_loadcnt 0x0
	s_wait_xcnt 0x0
	v_cmpx_eq_u16_e64 v18, v23
	s_cbranch_execz .LBB0_92
; %bb.91:                               ;   in Loop: Header=BB0_90 Depth=5
	global_load_u16 v23, v[24:25], off offset:2
.LBB0_92:                               ;   in Loop: Header=BB0_90 Depth=5
	s_wait_xcnt 0x0
	s_or_b32 exec_lo, exec_lo, s38
	s_wait_loadcnt 0x0
	v_bfe_i32 v24, v23, 0, 16
	s_mov_b32 s38, exec_lo
	s_delay_alu instid0(VALU_DEP_1) | instskip(NEXT) | instid1(VALU_DEP_1)
	v_ashrrev_i32_e32 v25, 31, v24
	v_lshlrev_b64_e32 v[24:25], 2, v[24:25]
	s_delay_alu instid0(VALU_DEP_1)
	v_add_nc_u64_e32 v[50:51], v[12:13], v[24:25]
	v_add_nc_u64_e32 v[24:25], v[14:15], v[24:25]
	global_load_b32 v23, v[50:51], off
	global_load_b32 v49, v[24:25], off
	s_wait_loadcnt 0x1
	v_minmax_i32 v23, v45, v23, v21
	s_wait_loadcnt 0x0
	v_minmax_i32 v24, v47, v49, v46
	s_delay_alu instid0(VALU_DEP_1) | instskip(NEXT) | instid1(VALU_DEP_1)
	v_dual_sub_nc_u32 v23, v23, v19 :: v_dual_sub_nc_u32 v24, v24, v42
	v_dual_sub_nc_u32 v25, 0, v23 :: v_dual_sub_nc_u32 v49, 0, v24
	s_delay_alu instid0(VALU_DEP_1) | instskip(NEXT) | instid1(VALU_DEP_2)
	v_max_i32_e32 v23, v23, v25
	v_max_i32_e32 v24, v24, v49
	s_delay_alu instid0(VALU_DEP_1) | instskip(NEXT) | instid1(VALU_DEP_1)
	v_add_nc_u32_e32 v23, v24, v23
	v_cmpx_ne_u32_e32 0, v23
	s_cbranch_execz .LBB0_89
; %bb.93:                               ;   in Loop: Header=BB0_90 Depth=5
	v_lshlrev_b32_e32 v23, 9, v23
	v_lshl_add_u32 v24, v22, 2, v27
	s_delay_alu instid0(VALU_DEP_2)
	v_dual_add_nc_u32 v22, v23, v22 :: v_dual_add_nc_u32 v23, v23, v20
	ds_max_i32 v48, v22
	ds_max_i32 v24, v23
	s_branch .LBB0_89
.LBB0_94:                               ;   in Loop: Header=BB0_37 Depth=2
	s_or_b32 exec_lo, exec_lo, s2
	v_dual_mov_b32 v2, v9 :: v_dual_add_nc_u32 v11, -2, v2
	v_mov_b32_e32 v18, v5
	s_mov_b32 s2, 0
                                        ; implicit-def: $vgpr19
                                        ; implicit-def: $vgpr20
	s_branch .LBB0_97
.LBB0_95:                               ;   in Loop: Header=BB0_97 Depth=3
	s_wait_xcnt 0x0
	s_or_b32 exec_lo, exec_lo, s30
	s_bcnt1_i32_b32 s30, vcc_lo
	v_add_nc_u16 v18, v18, 32
	v_add_nc_u16 v2, v9, s30
	s_mov_b32 s30, 0
.LBB0_96:                               ;   in Loop: Header=BB0_97 Depth=3
	s_and_not1_b32 s31, s3, exec_lo
	s_and_b32 s2, s2, exec_lo
	s_and_b32 vcc_lo, exec_lo, s30
	s_or_b32 s2, s31, s2
	s_cbranch_vccnz .LBB0_36
.LBB0_97:                               ;   Parent Loop BB0_4 Depth=1
                                        ;     Parent Loop BB0_37 Depth=2
                                        ; =>    This Inner Loop Header: Depth=3
	s_delay_alu instid0(VALU_DEP_1) | instskip(SKIP_2) | instid1(VALU_DEP_2)
	v_bfe_i32 v18, v18, 0, 16
	v_mov_b32_e32 v9, v2
	s_mov_b32 s3, s2
	v_cmp_gt_i32_e32 vcc_lo, v11, v18
	s_cbranch_vccz .LBB0_110
; %bb.98:                               ;   in Loop: Header=BB0_97 Depth=3
	s_mov_b32 s31, 0
	s_mov_b32 s2, s3
	s_and_saveexec_b32 s30, vcc_lo
	s_cbranch_execz .LBB0_108
; %bb.99:                               ;   in Loop: Header=BB0_97 Depth=3
	v_lshl_add_u32 v2, v18, 2, v27
	s_mov_b32 s33, 0
	s_mov_b32 s34, s3
	s_wait_loadcnt 0x0
	ds_load_b32 v21, v2
	s_wait_dscnt 0x0
	v_and_b32_e32 v2, 0x1ff, v21
	v_cmp_lt_i32_e32 vcc_lo, 0, v21
	s_delay_alu instid0(VALU_DEP_2) | instskip(SKIP_1) | instid1(SALU_CYCLE_1)
	v_cmp_gt_i32_e64 s2, v2, v18
	s_and_b32 s2, vcc_lo, s2
	s_and_saveexec_b32 s31, s2
	s_cbranch_execz .LBB0_107
; %bb.100:                              ;   in Loop: Header=BB0_97 Depth=3
	v_lshl_add_u32 v21, v2, 2, v27
	s_mov_b32 s2, 0
	s_mov_b32 s34, s3
	s_mov_b32 s33, exec_lo
	ds_load_b32 v21, v21
	s_wait_dscnt 0x0
	v_ashrrev_i32_e32 v22, 31, v21
	s_delay_alu instid0(VALU_DEP_1) | instskip(NEXT) | instid1(VALU_DEP_1)
	v_lshrrev_b32_e32 v22, 23, v22
	v_add_nc_u32_e32 v22, v21, v22
	s_delay_alu instid0(VALU_DEP_1) | instskip(NEXT) | instid1(VALU_DEP_1)
	v_and_b32_e32 v22, 0xfffffe00, v22
	v_sub_nc_u32_e32 v21, v21, v22
	s_delay_alu instid0(VALU_DEP_1)
	v_cmpx_eq_u32_e64 v21, v18
	s_cbranch_execz .LBB0_106
; %bb.101:                              ;   in Loop: Header=BB0_97 Depth=3
	v_lshlrev_b32_e32 v2, 2, v2
	v_ashrrev_i32_e32 v19, 31, v18
	s_delay_alu instid0(VALU_DEP_2) | instskip(NEXT) | instid1(VALU_DEP_2)
	v_add_nc_u64_e32 v[20:21], v[16:17], v[2:3]
	v_lshl_add_u64 v[22:23], v[18:19], 2, v[16:17]
	s_clause 0x1
	global_load_b32 v2, v[22:23], off
	global_load_u16 v19, v[20:21], off
	s_wait_loadcnt 0x1
	s_wait_xcnt 0x1
	v_bfe_i32 v22, v2, 0, 16
	s_wait_loadcnt 0x0
	v_bfe_i32 v24, v19, 0, 16
	v_lshrrev_b32_e32 v2, 16, v2
	s_delay_alu instid0(VALU_DEP_2) | instskip(NEXT) | instid1(VALU_DEP_2)
	v_dual_ashrrev_i32 v23, 31, v22 :: v_dual_ashrrev_i32 v25, 31, v24
	v_bfe_i32 v42, v2, 0, 16
	s_delay_alu instid0(VALU_DEP_2) | instskip(NEXT) | instid1(VALU_DEP_3)
	v_lshlrev_b64_e32 v[22:23], 2, v[22:23]
	v_lshlrev_b64_e32 v[24:25], 2, v[24:25]
	s_delay_alu instid0(VALU_DEP_3) | instskip(NEXT) | instid1(VALU_DEP_1)
	v_ashrrev_i32_e32 v43, 31, v42
	v_lshlrev_b64_e32 v[42:43], 2, v[42:43]
	s_delay_alu instid0(VALU_DEP_4)
	v_add_nc_u64_e32 v[44:45], v[12:13], v[22:23]
	v_add_nc_u64_e32 v[46:47], v[14:15], v[22:23]
	;; [unrolled: 1-line block ×4, first 2 shown]
	global_load_b32 v2, v[44:45], off
	global_load_b32 v22, v[46:47], off
	;; [unrolled: 1-line block ×4, first 2 shown]
	s_wait_xcnt 0x3
	v_add_nc_u64_e32 v[44:45], v[12:13], v[42:43]
	v_add_nc_u64_e32 v[42:43], v[14:15], v[42:43]
	global_load_b32 v19, v[44:45], off
	global_load_b32 v23, v[42:43], off
	s_wait_loadcnt 0x3
	v_cmp_eq_u32_e32 vcc_lo, v24, v2
	s_wait_loadcnt 0x2
	v_cmp_eq_u32_e64 s2, v25, v22
	s_and_b32 s34, vcc_lo, s2
	s_delay_alu instid0(SALU_CYCLE_1)
	s_xor_b32 s2, s34, -1
	s_wait_xcnt 0x0
	s_and_saveexec_b32 s35, s2
	s_cbranch_execz .LBB0_103
; %bb.102:                              ;   in Loop: Header=BB0_97 Depth=3
	s_wait_loadcnt 0x1
	v_cmp_eq_u32_e32 vcc_lo, v24, v19
	s_wait_loadcnt 0x0
	v_cmp_eq_u32_e64 s2, v25, v23
	s_and_not1_b32 s34, s34, exec_lo
	s_and_b32 s2, vcc_lo, s2
	s_delay_alu instid0(SALU_CYCLE_1) | instskip(NEXT) | instid1(SALU_CYCLE_1)
	s_and_b32 s2, s2, exec_lo
	s_or_b32 s34, s34, s2
.LBB0_103:                              ;   in Loop: Header=BB0_97 Depth=3
	s_or_b32 exec_lo, exec_lo, s35
	s_and_saveexec_b32 s2, s34
	s_cbranch_execz .LBB0_105
; %bb.104:                              ;   in Loop: Header=BB0_97 Depth=3
	global_load_u16 v20, v[20:21], off offset:2
	s_wait_loadcnt 0x0
	v_bfe_i32 v20, v20, 0, 16
	s_delay_alu instid0(VALU_DEP_1) | instskip(NEXT) | instid1(VALU_DEP_1)
	v_ashrrev_i32_e32 v21, 31, v20
	v_lshlrev_b64_e32 v[20:21], 2, v[20:21]
	s_delay_alu instid0(VALU_DEP_1)
	v_add_nc_u64_e32 v[42:43], v[12:13], v[20:21]
	v_add_nc_u64_e32 v[20:21], v[14:15], v[20:21]
	global_load_b32 v24, v[42:43], off
	global_load_b32 v25, v[20:21], off
.LBB0_105:                              ;   in Loop: Header=BB0_97 Depth=3
	s_wait_xcnt 0x0
	s_or_b32 exec_lo, exec_lo, s2
	s_wait_loadcnt 0x1
	v_med3_i32 v19, v2, v19, v24
	s_wait_loadcnt 0x0
	v_med3_i32 v20, v22, v23, v25
	s_mov_b32 s2, exec_lo
	s_or_b32 s34, s3, exec_lo
.LBB0_106:                              ;   in Loop: Header=BB0_97 Depth=3
	s_or_b32 exec_lo, exec_lo, s33
	s_delay_alu instid0(SALU_CYCLE_1) | instskip(SKIP_1) | instid1(SALU_CYCLE_1)
	s_and_not1_b32 s33, s3, exec_lo
	s_and_b32 s34, s34, exec_lo
	s_or_b32 s34, s33, s34
	s_and_b32 s33, s2, exec_lo
.LBB0_107:                              ;   in Loop: Header=BB0_97 Depth=3
	s_or_b32 exec_lo, exec_lo, s31
	s_delay_alu instid0(SALU_CYCLE_1)
	s_and_not1_b32 s2, s3, exec_lo
	s_and_b32 s34, s34, exec_lo
	s_and_b32 s31, s33, exec_lo
	s_or_b32 s2, s2, s34
.LBB0_108:                              ;   in Loop: Header=BB0_97 Depth=3
	s_or_b32 exec_lo, exec_lo, s30
	v_cndmask_b32_e64 v2, 0, 1, s31
	s_delay_alu instid0(VALU_DEP_1)
	v_cmp_ne_u32_e32 vcc_lo, 0, v2
	s_and_saveexec_b32 s30, s31
	s_cbranch_execz .LBB0_95
; %bb.109:                              ;   in Loop: Header=BB0_97 Depth=3
	v_bfe_i32 v22, v9, 0, 16
	s_delay_alu instid0(VALU_DEP_1) | instskip(NEXT) | instid1(VALU_DEP_1)
	v_dual_ashrrev_i32 v23, 31, v22 :: v_dual_bitop2_b32 v2, vcc_lo, v4 bitop3:0x40
	v_bcnt_u32_b32 v2, v2, 0
	s_delay_alu instid0(VALU_DEP_1) | instskip(NEXT) | instid1(VALU_DEP_1)
	v_add_nc_u64_e32 v[22:23], v[2:3], v[22:23]
	v_lshlrev_b64_e32 v[22:23], 2, v[22:23]
	s_delay_alu instid0(VALU_DEP_1)
	v_add_nc_u64_e32 v[24:25], v[12:13], v[22:23]
	v_add_nc_u64_e32 v[22:23], v[14:15], v[22:23]
	s_wait_dscnt 0x0
	global_store_b32 v[24:25], v19, off
	global_store_b32 v[22:23], v20, off
	s_branch .LBB0_95
.LBB0_110:                              ;   in Loop: Header=BB0_97 Depth=3
	s_mov_b32 s30, -1
                                        ; implicit-def: $sgpr2
                                        ; implicit-def: $vgpr18
                                        ; implicit-def: $vgpr20
                                        ; implicit-def: $vgpr19
                                        ; implicit-def: $vgpr2
	s_branch .LBB0_96
.LBB0_111:                              ;   in Loop: Header=BB0_4 Depth=1
	s_or_b32 exec_lo, exec_lo, s29
	s_delay_alu instid0(SALU_CYCLE_1) | instskip(SKIP_2) | instid1(SALU_CYCLE_1)
	s_and_not1_b32 s27, s27, exec_lo
	s_or_b32 exec_lo, exec_lo, s28
	s_and_saveexec_b32 s2, s27
	s_xor_b32 s2, exec_lo, s2
	s_cbranch_execz .LBB0_2
.LBB0_112:                              ;   in Loop: Header=BB0_4 Depth=1
	s_and_saveexec_b32 s3, s0
	s_delay_alu instid0(SALU_CYCLE_1)
	s_xor_b32 s3, exec_lo, s3
	s_cbranch_execz .LBB0_1
; %bb.113:                              ;   in Loop: Header=BB0_4 Depth=1
	global_store_b32 v10, v41, s[16:17] scale_offset
	s_branch .LBB0_1
.LBB0_114:
	s_or_b32 exec_lo, exec_lo, s19
	s_bfe_u32 s0, ttmp6, 0x4000c
	s_and_b32 s1, ttmp6, 15
	s_add_co_i32 s0, s0, 1
	s_getreg_b32 s2, hwreg(HW_REG_IB_STS2, 6, 4)
	s_mul_i32 s0, ttmp9, s0
	s_delay_alu instid0(SALU_CYCLE_1) | instskip(SKIP_2) | instid1(SALU_CYCLE_1)
	s_add_co_i32 s1, s1, s0
	s_cmp_eq_u32 s2, 0
	s_cselect_b32 s0, ttmp9, s1
	v_or_b32_e32 v0, s0, v0
	s_mov_b32 s0, exec_lo
	s_delay_alu instid0(VALU_DEP_1)
	v_cmpx_eq_u32_e32 0, v0
	s_cbranch_execz .LBB0_116
; %bb.115:
	s_ashr_i32 s1, s18, 31
	s_mov_b32 s0, s18
	s_delay_alu instid0(SALU_CYCLE_1) | instskip(NEXT) | instid1(SALU_CYCLE_1)
	s_lshl_b64 s[0:1], s[0:1], 2
	s_add_nc_u64 s[0:1], s[4:5], s[0:1]
	s_load_b32 s0, s[0:1], 0x0
	s_wait_kmcnt 0x0
	s_lshl_b32 s0, s0, 1
	s_delay_alu instid0(SALU_CYCLE_1)
	v_dual_mov_b32 v0, s18 :: v_dual_mov_b32 v1, s0
	global_store_b32 v0, v1, s[10:11] scale_offset
.LBB0_116:
	s_endpgm
	.section	.rodata,"a",@progbits
	.p2align	6, 0x0
	.amdhsa_kernel _ZL14largeNetKernelILi12ELi64EEvPKiS1_S1_PiS2_S2_P4edgeiS2_
		.amdhsa_group_segment_fixed_size 21552
		.amdhsa_private_segment_fixed_size 0
		.amdhsa_kernarg_size 72
		.amdhsa_user_sgpr_count 2
		.amdhsa_user_sgpr_dispatch_ptr 0
		.amdhsa_user_sgpr_queue_ptr 0
		.amdhsa_user_sgpr_kernarg_segment_ptr 1
		.amdhsa_user_sgpr_dispatch_id 0
		.amdhsa_user_sgpr_kernarg_preload_length 0
		.amdhsa_user_sgpr_kernarg_preload_offset 0
		.amdhsa_user_sgpr_private_segment_size 0
		.amdhsa_wavefront_size32 1
		.amdhsa_uses_dynamic_stack 0
		.amdhsa_enable_private_segment 0
		.amdhsa_system_sgpr_workgroup_id_x 1
		.amdhsa_system_sgpr_workgroup_id_y 0
		.amdhsa_system_sgpr_workgroup_id_z 0
		.amdhsa_system_sgpr_workgroup_info 0
		.amdhsa_system_vgpr_workitem_id 0
		.amdhsa_next_free_vgpr 52
		.amdhsa_next_free_sgpr 39
		.amdhsa_named_barrier_count 0
		.amdhsa_reserve_vcc 1
		.amdhsa_float_round_mode_32 0
		.amdhsa_float_round_mode_16_64 0
		.amdhsa_float_denorm_mode_32 3
		.amdhsa_float_denorm_mode_16_64 3
		.amdhsa_fp16_overflow 0
		.amdhsa_memory_ordered 1
		.amdhsa_forward_progress 1
		.amdhsa_inst_pref_size 42
		.amdhsa_round_robin_scheduling 0
		.amdhsa_exception_fp_ieee_invalid_op 0
		.amdhsa_exception_fp_denorm_src 0
		.amdhsa_exception_fp_ieee_div_zero 0
		.amdhsa_exception_fp_ieee_overflow 0
		.amdhsa_exception_fp_ieee_underflow 0
		.amdhsa_exception_fp_ieee_inexact 0
		.amdhsa_exception_int_div_zero 0
	.end_amdhsa_kernel
	.section	.text._ZL14largeNetKernelILi12ELi64EEvPKiS1_S1_PiS2_S2_P4edgeiS2_,"axG",@progbits,_ZL14largeNetKernelILi12ELi64EEvPKiS1_S1_PiS2_S2_P4edgeiS2_,comdat
.Lfunc_end0:
	.size	_ZL14largeNetKernelILi12ELi64EEvPKiS1_S1_PiS2_S2_P4edgeiS2_, .Lfunc_end0-_ZL14largeNetKernelILi12ELi64EEvPKiS1_S1_PiS2_S2_P4edgeiS2_
                                        ; -- End function
	.set _ZL14largeNetKernelILi12ELi64EEvPKiS1_S1_PiS2_S2_P4edgeiS2_.num_vgpr, 52
	.set _ZL14largeNetKernelILi12ELi64EEvPKiS1_S1_PiS2_S2_P4edgeiS2_.num_agpr, 0
	.set _ZL14largeNetKernelILi12ELi64EEvPKiS1_S1_PiS2_S2_P4edgeiS2_.numbered_sgpr, 39
	.set _ZL14largeNetKernelILi12ELi64EEvPKiS1_S1_PiS2_S2_P4edgeiS2_.num_named_barrier, 0
	.set _ZL14largeNetKernelILi12ELi64EEvPKiS1_S1_PiS2_S2_P4edgeiS2_.private_seg_size, 0
	.set _ZL14largeNetKernelILi12ELi64EEvPKiS1_S1_PiS2_S2_P4edgeiS2_.uses_vcc, 1
	.set _ZL14largeNetKernelILi12ELi64EEvPKiS1_S1_PiS2_S2_P4edgeiS2_.uses_flat_scratch, 0
	.set _ZL14largeNetKernelILi12ELi64EEvPKiS1_S1_PiS2_S2_P4edgeiS2_.has_dyn_sized_stack, 0
	.set _ZL14largeNetKernelILi12ELi64EEvPKiS1_S1_PiS2_S2_P4edgeiS2_.has_recursion, 0
	.set _ZL14largeNetKernelILi12ELi64EEvPKiS1_S1_PiS2_S2_P4edgeiS2_.has_indirect_call, 0
	.section	.AMDGPU.csdata,"",@progbits
; Kernel info:
; codeLenInByte = 5312
; TotalNumSgprs: 41
; NumVgprs: 52
; ScratchSize: 0
; MemoryBound: 0
; FloatMode: 240
; IeeeMode: 1
; LDSByteSize: 21552 bytes/workgroup (compile time only)
; SGPRBlocks: 0
; VGPRBlocks: 3
; NumSGPRsForWavesPerEU: 41
; NumVGPRsForWavesPerEU: 52
; NamedBarCnt: 0
; Occupancy: 15
; WaveLimiterHint : 1
; COMPUTE_PGM_RSRC2:SCRATCH_EN: 0
; COMPUTE_PGM_RSRC2:USER_SGPR: 2
; COMPUTE_PGM_RSRC2:TRAP_HANDLER: 0
; COMPUTE_PGM_RSRC2:TGID_X_EN: 1
; COMPUTE_PGM_RSRC2:TGID_Y_EN: 0
; COMPUTE_PGM_RSRC2:TGID_Z_EN: 0
; COMPUTE_PGM_RSRC2:TIDIG_COMP_CNT: 0
	.section	.text._ZL14largeNetKernelILi24ELi64EEvPKiS1_S1_PiS2_S2_P4edgeiS2_,"axG",@progbits,_ZL14largeNetKernelILi24ELi64EEvPKiS1_S1_PiS2_S2_P4edgeiS2_,comdat
	.globl	_ZL14largeNetKernelILi24ELi64EEvPKiS1_S1_PiS2_S2_P4edgeiS2_ ; -- Begin function _ZL14largeNetKernelILi24ELi64EEvPKiS1_S1_PiS2_S2_P4edgeiS2_
	.p2align	8
	.type	_ZL14largeNetKernelILi24ELi64EEvPKiS1_S1_PiS2_S2_P4edgeiS2_,@function
_ZL14largeNetKernelILi24ELi64EEvPKiS1_S1_PiS2_S2_P4edgeiS2_: ; @_ZL14largeNetKernelILi24ELi64EEvPKiS1_S1_PiS2_S2_P4edgeiS2_
; %bb.0:
	v_dual_lshrrev_b32 v2, 5, v0 :: v_dual_bitop2_b32 v5, 31, v0 bitop3:0x40
	s_clause 0x3
	s_load_b64 s[20:21], s[0:1], 0x40
	s_load_b256 s[4:11], s[0:1], 0x0
	s_load_b128 s[12:15], s[0:1], 0x20
	s_load_b96 s[16:18], s[0:1], 0x30
	v_dual_mov_b32 v26, 8 :: v_dual_lshlrev_b32 v8, 8, v2
	v_lshlrev_b64_e64 v[6:7], v5, -1
	v_dual_lshlrev_b32 v7, 7, v2 :: v_dual_lshlrev_b32 v32, 10, v2
	v_lshl_or_b32 v29, v2, 2, 0xa800
	s_delay_alu instid0(VALU_DEP_4)
	v_or_b32_e32 v27, 0x6000, v8
	v_dual_mov_b32 v40, 1 :: v_dual_add_nc_u32 v31, 0x7800, v8
	v_not_b32_e32 v4, v6
	v_or_b32_e32 v28, 0x9000, v7
	v_dual_mov_b32 v39, -1 :: v_dual_add_nc_u32 v30, 0x9c00, v7
	v_perm_b32 v2, v5, v5, 0x5040100
	v_or_b32_e32 v6, 64, v5
	v_or_b32_e32 v7, 0x60, v5
	;; [unrolled: 1-line block ×3, first 2 shown]
	v_lshl_or_b32 v8, v5, 2, v8
	v_dual_mov_b32 v3, 0 :: v_dual_mov_b32 v1, 4
	s_wait_xcnt 0x0
	v_cmp_eq_u32_e64 s0, 0, v5
	v_cmp_gt_u32_e64 s1, 3, v5
	v_bitop3_b32 v33, v0, 31, v0 bitop3:0x3f
	v_perm_b32 v35, 3, v5, 0x5040100
	v_or_b32_e32 v36, 0x200000, v2
	v_perm_b32 v7, v7, v6, 0x5040100
	v_perm_b32 v6, v34, v5, 0x5040100
	v_add_nc_u32_e32 v37, 0x7800, v8
	v_bfrev_b32_e32 v38, -2
	v_mov_b32_e32 v41, 0x10000
	s_mov_b32 s19, 0
	s_get_pc_i64 s[22:23]
	s_add_nc_u64 s[22:23], s[22:23], _ZL8currpos1@rel64+4
	s_get_pc_i64 s[24:25]
	s_add_nc_u64 s[24:25], s[24:25], _ZL6wlsize@rel64+4
                                        ; implicit-def: $vgpr8
	s_branch .LBB1_4
.LBB1_1:                                ;   in Loop: Header=BB1_4 Depth=1
	s_wait_xcnt 0x0
	s_or_b32 exec_lo, exec_lo, s3
.LBB1_2:                                ;   in Loop: Header=BB1_4 Depth=1
	s_delay_alu instid0(SALU_CYCLE_1) | instskip(NEXT) | instid1(SALU_CYCLE_1)
	s_or_b32 exec_lo, exec_lo, s2
	s_xor_b32 s2, exec_lo, -1
.LBB1_3:                                ;   in Loop: Header=BB1_4 Depth=1
	s_or_b32 exec_lo, exec_lo, s26
	s_delay_alu instid0(SALU_CYCLE_1) | instskip(NEXT) | instid1(SALU_CYCLE_1)
	s_and_b32 s2, exec_lo, s2
	s_or_b32 s19, s2, s19
	s_delay_alu instid0(SALU_CYCLE_1)
	s_and_not1_b32 exec_lo, exec_lo, s19
	s_cbranch_execz .LBB1_114
.LBB1_4:                                ; =>This Loop Header: Depth=1
                                        ;     Child Loop BB1_13 Depth 2
                                        ;     Child Loop BB1_15 Depth 2
	;; [unrolled: 1-line block ×3, first 2 shown]
                                        ;       Child Loop BB1_41 Depth 3
                                        ;       Child Loop BB1_46 Depth 3
	;; [unrolled: 1-line block ×5, first 2 shown]
                                        ;         Child Loop BB1_64 Depth 4
                                        ;       Child Loop BB1_70 Depth 3
                                        ;       Child Loop BB1_75 Depth 3
	;; [unrolled: 1-line block ×3, first 2 shown]
                                        ;         Child Loop BB1_85 Depth 4
                                        ;           Child Loop BB1_90 Depth 5
                                        ;       Child Loop BB1_97 Depth 3
	s_and_saveexec_b32 s2, s0
	s_cbranch_execz .LBB1_8
; %bb.5:                                ;   in Loop: Header=BB1_4 Depth=1
	s_mov_b32 s26, exec_lo
	s_mov_b32 s3, exec_lo
	v_mbcnt_lo_u32_b32 v2, s26, 0
                                        ; implicit-def: $vgpr8
	s_delay_alu instid0(VALU_DEP_1)
	v_cmpx_eq_u32_e32 0, v2
	s_cbranch_execz .LBB1_7
; %bb.6:                                ;   in Loop: Header=BB1_4 Depth=1
	s_bcnt1_i32_b32 s26, s26
	s_delay_alu instid0(SALU_CYCLE_1)
	v_mov_b32_e32 v8, s26
	global_atomic_add_u32 v8, v3, v8, s[22:23] th:TH_ATOMIC_RETURN scope:SCOPE_DEV
.LBB1_7:                                ;   in Loop: Header=BB1_4 Depth=1
	s_wait_xcnt 0x0
	s_or_b32 exec_lo, exec_lo, s3
	s_wait_loadcnt 0x0
	v_readfirstlane_b32 s3, v8
	s_delay_alu instid0(VALU_DEP_1)
	v_add_nc_u32_e32 v8, s3, v2
.LBB1_8:                                ;   in Loop: Header=BB1_4 Depth=1
	s_or_b32 exec_lo, exec_lo, s2
	ds_bpermute_b32 v8, v3, v8
	s_mov_b32 s2, -1
	s_mov_b32 s26, exec_lo
	s_wait_dscnt 0x0
	s_wait_kmcnt 0x0
	v_cmpx_gt_i32_e64 s18, v8
	s_cbranch_execz .LBB1_3
; %bb.9:                                ;   in Loop: Header=BB1_4 Depth=1
	v_ashrrev_i32_e32 v9, 31, v8
	s_delay_alu instid0(VALU_DEP_1)
	v_lshl_add_u64 v[10:11], v[8:9], 2, s[4:5]
	global_load_b64 v[12:13], v[10:11], off
	s_wait_loadcnt 0x0
	s_wait_xcnt 0x0
	v_lshlrev_b32_e32 v10, 1, v12
	s_and_saveexec_b32 s2, s0
	s_cbranch_execz .LBB1_11
; %bb.10:                               ;   in Loop: Header=BB1_4 Depth=1
	v_lshl_add_u64 v[14:15], v[8:9], 2, s[10:11]
	global_store_b32 v[14:15], v10, off
.LBB1_11:                               ;   in Loop: Header=BB1_4 Depth=1
	s_wait_xcnt 0x0
	s_or_b32 exec_lo, exec_lo, s2
	v_sub_nc_u32_e32 v9, v13, v12
	s_mov_b32 s2, exec_lo
	s_delay_alu instid0(VALU_DEP_1) | instskip(NEXT) | instid1(VALU_DEP_1)
	v_bfe_i32 v2, v9, 0, 16
	v_cmpx_lt_i32_e64 v5, v2
	s_cbranch_execz .LBB1_16
; %bb.12:                               ;   in Loop: Header=BB1_4 Depth=1
	v_mov_b32_e32 v11, v5
	s_mov_b32 s3, 0
.LBB1_13:                               ;   Parent Loop BB1_4 Depth=1
                                        ; =>  This Inner Loop Header: Depth=2
	s_delay_alu instid0(VALU_DEP_1) | instskip(SKIP_1) | instid1(VALU_DEP_1)
	v_add_nc_u32_e32 v13, v11, v12
	v_lshl_add_u32 v11, v11, 16, 0x200000
	v_ashrrev_i32_e32 v11, 16, v11
	global_load_b32 v14, v13, s[6:7] scale_offset
	s_wait_xcnt 0x0
	v_add_nc_u32_e32 v13, v13, v12
	v_cmp_ge_i32_e32 vcc_lo, v11, v2
	s_or_b32 s3, vcc_lo, s3
	s_wait_loadcnt 0x0
	global_store_b32 v13, v14, s[12:13] scale_offset
	s_wait_xcnt 0x0
	s_and_not1_b32 exec_lo, exec_lo, s3
	s_cbranch_execnz .LBB1_13
; %bb.14:                               ;   in Loop: Header=BB1_4 Depth=1
	s_or_b32 exec_lo, exec_lo, s3
	v_mov_b32_e32 v11, v5
	s_mov_b32 s3, 0
.LBB1_15:                               ;   Parent Loop BB1_4 Depth=1
                                        ; =>  This Inner Loop Header: Depth=2
	s_delay_alu instid0(VALU_DEP_1) | instskip(SKIP_1) | instid1(VALU_DEP_1)
	v_add_nc_u32_e32 v13, v11, v12
	v_lshl_add_u32 v11, v11, 16, 0x200000
	v_ashrrev_i32_e32 v11, 16, v11
	global_load_b32 v14, v13, s[8:9] scale_offset
	s_wait_xcnt 0x0
	v_add_nc_u32_e32 v13, v13, v12
	v_cmp_ge_i32_e32 vcc_lo, v11, v2
	s_or_b32 s3, vcc_lo, s3
	s_wait_loadcnt 0x0
	global_store_b32 v13, v14, s[14:15] scale_offset
	s_wait_xcnt 0x0
	s_and_not1_b32 exec_lo, exec_lo, s3
	s_cbranch_execnz .LBB1_15
.LBB1_16:                               ;   in Loop: Header=BB1_4 Depth=1
	s_or_b32 exec_lo, exec_lo, s2
	v_lshlrev_b32_e32 v11, 16, v9
	s_mov_b32 s27, 0
	s_mov_b32 s3, 0
	s_mov_b32 s2, exec_lo
	s_delay_alu instid0(VALU_DEP_1)
	v_cmpx_lt_i32_e32 0x2ffff, v11
	s_xor_b32 s2, exec_lo, s2
	s_cbranch_execnz .LBB1_20
; %bb.17:                               ;   in Loop: Header=BB1_4 Depth=1
	s_and_not1_saveexec_b32 s2, s2
	s_cbranch_execnz .LBB1_27
.LBB1_18:                               ;   in Loop: Header=BB1_4 Depth=1
	s_or_b32 exec_lo, exec_lo, s2
	s_and_saveexec_b32 s2, s3
	s_delay_alu instid0(SALU_CYCLE_1)
	s_xor_b32 s28, exec_lo, s2
	s_cbranch_execnz .LBB1_28
.LBB1_19:                               ;   in Loop: Header=BB1_4 Depth=1
	s_or_b32 exec_lo, exec_lo, s28
	s_and_saveexec_b32 s2, s27
	s_delay_alu instid0(SALU_CYCLE_1)
	s_xor_b32 s2, exec_lo, s2
	s_cbranch_execz .LBB1_2
	s_branch .LBB1_112
.LBB1_20:                               ;   in Loop: Header=BB1_4 Depth=1
	s_mov_b32 s28, -1
	s_mov_b32 s3, exec_lo
	v_cmpx_eq_u32_e32 0x30000, v11
	s_cbranch_execz .LBB1_26
; %bb.21:                               ;   in Loop: Header=BB1_4 Depth=1
                                        ; implicit-def: $vgpr11
                                        ; implicit-def: $vgpr12
	s_and_saveexec_b32 s28, s1
	s_cbranch_execz .LBB1_23
; %bb.22:                               ;   in Loop: Header=BB1_4 Depth=1
	v_add_nc_u32_e32 v13, v10, v5
	s_clause 0x2
	global_load_b32 v12, v13, s[12:13] scale_offset
	global_load_b32 v11, v13, s[14:15] scale_offset
	global_store_b32 v13, v35, s[16:17] scale_offset
.LBB1_23:                               ;   in Loop: Header=BB1_4 Depth=1
	s_wait_xcnt 0x0
	s_or_b32 exec_lo, exec_lo, s28
	s_wait_loadcnt 0x1
	ds_bpermute_b32 v14, v1, v12
	s_wait_loadcnt 0x0
	ds_bpermute_b32 v13, v1, v11
	ds_bpermute_b32 v16, v26, v12
	;; [unrolled: 1-line block ×3, first 2 shown]
	s_and_saveexec_b32 s28, s0
	s_delay_alu instid0(SALU_CYCLE_1)
	s_xor_b32 s28, exec_lo, s28
	s_cbranch_execz .LBB1_25
; %bb.24:                               ;   in Loop: Header=BB1_4 Depth=1
	s_wait_dscnt 0x1
	v_med3_i32 v12, v12, v14, v16
	s_wait_dscnt 0x0
	v_med3_i32 v11, v11, v13, v15
	s_clause 0x1
	global_store_b32 v10, v12, s[12:13] offset:12 scale_offset
	global_store_b32 v10, v11, s[14:15] offset:12 scale_offset
.LBB1_25:                               ;   in Loop: Header=BB1_4 Depth=1
	s_wait_xcnt 0x0
	s_or_b32 exec_lo, exec_lo, s28
	s_delay_alu instid0(SALU_CYCLE_1)
	s_xor_b32 s28, exec_lo, -1
.LBB1_26:                               ;   in Loop: Header=BB1_4 Depth=1
	s_or_b32 exec_lo, exec_lo, s3
	s_delay_alu instid0(SALU_CYCLE_1)
	s_and_b32 s3, s28, exec_lo
                                        ; implicit-def: $vgpr11
	s_and_not1_saveexec_b32 s2, s2
	s_cbranch_execz .LBB1_18
.LBB1_27:                               ;   in Loop: Header=BB1_4 Depth=1
	v_cmp_ne_u32_e32 vcc_lo, 0x20000, v11
	s_and_not1_b32 s3, s3, exec_lo
	s_mov_b32 s27, exec_lo
	s_and_b32 s28, vcc_lo, exec_lo
	s_delay_alu instid0(SALU_CYCLE_1) | instskip(SKIP_2) | instid1(SALU_CYCLE_1)
	s_or_b32 s3, s3, s28
	s_or_b32 exec_lo, exec_lo, s2
	s_and_saveexec_b32 s2, s3
	s_xor_b32 s28, exec_lo, s2
	s_cbranch_execz .LBB1_19
.LBB1_28:                               ;   in Loop: Header=BB1_4 Depth=1
	s_mov_b32 s2, exec_lo
	v_cmpx_lt_i32_e32 32, v2
	s_xor_b32 s2, exec_lo, s2
	s_cbranch_execz .LBB1_34
; %bb.29:                               ;   in Loop: Header=BB1_4 Depth=1
	s_and_saveexec_b32 s3, s0
	s_cbranch_execz .LBB1_33
; %bb.30:                               ;   in Loop: Header=BB1_4 Depth=1
	s_mov_b32 s30, exec_lo
	s_mov_b32 s29, exec_lo
	v_mbcnt_lo_u32_b32 v2, s30, 0
                                        ; implicit-def: $vgpr9
	s_delay_alu instid0(VALU_DEP_1)
	v_cmpx_eq_u32_e32 0, v2
	s_cbranch_execz .LBB1_32
; %bb.31:                               ;   in Loop: Header=BB1_4 Depth=1
	s_bcnt1_i32_b32 s30, s30
	s_delay_alu instid0(SALU_CYCLE_1)
	v_mov_b32_e32 v9, s30
	global_atomic_add_u32 v9, v3, v9, s[24:25] th:TH_ATOMIC_RETURN scope:SCOPE_DEV
.LBB1_32:                               ;   in Loop: Header=BB1_4 Depth=1
	s_wait_xcnt 0x0
	s_or_b32 exec_lo, exec_lo, s29
	s_wait_loadcnt 0x0
	v_readfirstlane_b32 s29, v9
	s_delay_alu instid0(VALU_DEP_1)
	v_add_nc_u32_e32 v2, s29, v2
	global_store_b32 v2, v8, s[20:21] scale_offset
.LBB1_33:                               ;   in Loop: Header=BB1_4 Depth=1
	s_wait_xcnt 0x0
	s_or_b32 exec_lo, exec_lo, s3
                                        ; implicit-def: $vgpr9
.LBB1_34:                               ;   in Loop: Header=BB1_4 Depth=1
	s_and_not1_saveexec_b32 s29, s2
	s_cbranch_execz .LBB1_111
; %bb.35:                               ;   in Loop: Header=BB1_4 Depth=1
	v_ashrrev_i32_e32 v11, 31, v10
	s_wait_dscnt 0x1
	s_delay_alu instid0(VALU_DEP_1) | instskip(NEXT) | instid1(VALU_DEP_1)
	v_lshlrev_b64_e32 v[16:17], 2, v[10:11]
	v_add_nc_u64_e32 v[12:13], s[12:13], v[16:17]
	s_wait_dscnt 0x0
	v_add_nc_u64_e32 v[14:15], s[14:15], v[16:17]
	v_add_nc_u64_e32 v[16:17], s[16:17], v[16:17]
	s_branch .LBB1_37
.LBB1_36:                               ;   in Loop: Header=BB1_37 Depth=2
	v_cndmask_b32_e64 v2, 0, 1, s3
	s_delay_alu instid0(VALU_DEP_1)
	v_cmp_ne_u32_e32 vcc_lo, 0, v2
	s_cbranch_vccz .LBB1_111
.LBB1_37:                               ;   Parent Loop BB1_4 Depth=1
                                        ; =>  This Loop Header: Depth=2
                                        ;       Child Loop BB1_41 Depth 3
                                        ;       Child Loop BB1_46 Depth 3
	;; [unrolled: 1-line block ×5, first 2 shown]
                                        ;         Child Loop BB1_64 Depth 4
                                        ;       Child Loop BB1_70 Depth 3
                                        ;       Child Loop BB1_75 Depth 3
	;; [unrolled: 1-line block ×3, first 2 shown]
                                        ;         Child Loop BB1_85 Depth 4
                                        ;           Child Loop BB1_90 Depth 5
                                        ;       Child Loop BB1_97 Depth 3
	v_bfe_i32 v2, v9, 0, 16
	s_mov_b32 s30, exec_lo
	s_delay_alu instid0(VALU_DEP_1) | instskip(NEXT) | instid1(VALU_DEP_1)
	v_add_nc_u32_e32 v11, -1, v2
	v_bfe_i32 v20, v11, 0, 16
	s_delay_alu instid0(VALU_DEP_1)
	v_cmpx_gt_i32_e64 v20, v5
	s_cbranch_execz .LBB1_56
; %bb.38:                               ;   in Loop: Header=BB1_37 Depth=2
	v_add_nc_u32_e32 v18, v20, v33
	s_mov_b32 s33, exec_lo
	s_wait_dscnt 0x0
	s_delay_alu instid0(VALU_DEP_1) | instskip(SKIP_1) | instid1(VALU_DEP_1)
	v_dual_mov_b32 v23, v5 :: v_dual_lshrrev_b32 v19, 5, v18
	s_wait_loadcnt 0x0
	v_add_nc_u32_e32 v21, 1, v19
	v_cmp_gt_u32_e64 s31, 0x1a0, v18
	v_lshlrev_b16 v22, 5, v19
	v_cmpx_lt_u32_e32 0x19f, v18
	s_cbranch_execz .LBB1_44
; %bb.39:                               ;   in Loop: Header=BB1_37 Depth=2
	s_delay_alu instid0(VALU_DEP_2) | instskip(SKIP_2) | instid1(VALU_DEP_3)
	v_add_nc_u16 v23, v34, v22
	v_cmp_gt_u16_e32 vcc_lo, 0x800, v19
	v_cmp_gt_u32_e64 s2, 0x200000, v18
	v_cmp_ge_i16_e64 s3, v23, v34
	v_mov_b32_e32 v23, v5
	s_and_b32 s2, vcc_lo, s2
	s_delay_alu instid0(SALU_CYCLE_1)
	s_and_b32 s34, s2, s3
	s_mov_b32 s3, -1
	s_and_saveexec_b32 s2, s34
	s_cbranch_execz .LBB1_43
; %bb.40:                               ;   in Loop: Header=BB1_37 Depth=2
	v_and_b32_e32 v23, 0xffffffe, v21
	s_mov_b32 s3, 0
	s_delay_alu instid0(VALU_DEP_1)
	v_dual_mov_b32 v25, v36 :: v_dual_mov_b32 v24, v23
.LBB1_41:                               ;   Parent Loop BB1_4 Depth=1
                                        ;     Parent Loop BB1_37 Depth=2
                                        ; =>    This Inner Loop Header: Depth=3
	s_delay_alu instid0(VALU_DEP_1) | instskip(SKIP_2) | instid1(VALU_DEP_3)
	v_dual_add_nc_u32 v24, -2, v24 :: v_dual_ashrrev_i32 v43, 16, v25
	v_bfe_i32 v42, v25, 0, 16
	v_pk_add_u16 v25, v25, 64 op_sel_hi:[1,0]
	v_cmp_eq_u32_e32 vcc_lo, 0, v24
	s_delay_alu instid0(VALU_DEP_4) | instskip(NEXT) | instid1(VALU_DEP_4)
	v_lshl_add_u32 v43, v43, 2, v27
	v_lshl_add_u32 v42, v42, 2, v27
	ds_store_b32 v42, v38
	ds_store_b32 v43, v38
	s_or_b32 s3, vcc_lo, s3
	s_delay_alu instid0(SALU_CYCLE_1)
	s_and_not1_b32 exec_lo, exec_lo, s3
	s_cbranch_execnz .LBB1_41
; %bb.42:                               ;   in Loop: Header=BB1_37 Depth=2
	s_or_b32 exec_lo, exec_lo, s3
	v_lshlrev_b16 v24, 5, v23
	v_cmp_ne_u32_e32 vcc_lo, v21, v23
	s_delay_alu instid0(VALU_DEP_2)
	v_or_b32_e32 v23, v24, v5
	s_or_not1_b32 s3, vcc_lo, exec_lo
.LBB1_43:                               ;   in Loop: Header=BB1_37 Depth=2
	s_or_b32 exec_lo, exec_lo, s2
	s_delay_alu instid0(SALU_CYCLE_1) | instskip(SKIP_1) | instid1(SALU_CYCLE_1)
	s_and_not1_b32 s2, s31, exec_lo
	s_and_b32 s3, s3, exec_lo
	s_or_b32 s31, s2, s3
.LBB1_44:                               ;   in Loop: Header=BB1_37 Depth=2
	s_or_b32 exec_lo, exec_lo, s33
	s_and_saveexec_b32 s2, s31
	s_cbranch_execz .LBB1_47
; %bb.45:                               ;   in Loop: Header=BB1_37 Depth=2
	s_mov_b32 s3, 0
.LBB1_46:                               ;   Parent Loop BB1_4 Depth=1
                                        ;     Parent Loop BB1_37 Depth=2
                                        ; =>    This Inner Loop Header: Depth=3
	v_bfe_i32 v24, v23, 0, 16
	v_add_nc_u16 v23, v23, 32
	s_delay_alu instid0(VALU_DEP_2) | instskip(NEXT) | instid1(VALU_DEP_2)
	v_lshl_add_u32 v24, v24, 2, v27
	v_bfe_i32 v25, v23, 0, 16
	ds_store_b32 v24, v38
	v_cmp_le_i32_e32 vcc_lo, v20, v25
	s_or_b32 s3, vcc_lo, s3
	s_delay_alu instid0(SALU_CYCLE_1)
	s_and_not1_b32 exec_lo, exec_lo, s3
	s_cbranch_execnz .LBB1_46
.LBB1_47:                               ;   in Loop: Header=BB1_37 Depth=2
	s_or_b32 exec_lo, exec_lo, s2
	v_cmp_gt_u32_e64 s31, 0x160, v18
	v_mov_b32_e32 v23, v5
	s_mov_b32 s33, exec_lo
	v_cmpx_lt_u32_e32 0x15f, v18
	s_cbranch_execz .LBB1_53
; %bb.48:                               ;   in Loop: Header=BB1_37 Depth=2
	v_add_nc_u16 v22, v34, v22
	v_cmp_gt_u16_e32 vcc_lo, 0x800, v19
	v_cmp_gt_u32_e64 s2, 0x200000, v18
	v_mov_b32_e32 v23, v5
	s_delay_alu instid0(VALU_DEP_4) | instskip(SKIP_1) | instid1(SALU_CYCLE_1)
	v_cmp_ge_i16_e64 s3, v22, v34
	s_and_b32 s2, vcc_lo, s2
	s_and_b32 s34, s2, s3
	s_mov_b32 s3, -1
	s_and_saveexec_b32 s2, s34
	s_cbranch_execz .LBB1_52
; %bb.49:                               ;   in Loop: Header=BB1_37 Depth=2
	v_and_b32_e32 v22, 0xffffffc, v21
	v_mov_b64_e32 v[18:19], v[6:7]
	s_mov_b32 s3, 0
	s_delay_alu instid0(VALU_DEP_2)
	v_mov_b32_e32 v23, v22
.LBB1_50:                               ;   Parent Loop BB1_4 Depth=1
                                        ;     Parent Loop BB1_37 Depth=2
                                        ; =>    This Inner Loop Header: Depth=3
	s_delay_alu instid0(VALU_DEP_1) | instskip(NEXT) | instid1(VALU_DEP_3)
	v_add_nc_u32_e32 v23, -4, v23
	v_bfe_i32 v44, v18, 0, 16
	s_delay_alu instid0(VALU_DEP_4) | instskip(SKIP_1) | instid1(VALU_DEP_4)
	v_bfe_i32 v45, v19, 0, 16
	v_dual_ashrrev_i32 v42, 16, v19 :: v_dual_ashrrev_i32 v43, 16, v18
	v_cmp_eq_u32_e32 vcc_lo, 0, v23
	v_pk_add_u16 v24, v19, 1 op_sel_hi:[1,0]
	v_pk_add_u16 v25, v18, 1 op_sel_hi:[1,0]
	;; [unrolled: 1-line block ×4, first 2 shown]
	v_lshl_add_u32 v44, v44, 1, v28
	v_lshl_add_u32 v45, v45, 1, v28
	;; [unrolled: 1-line block ×4, first 2 shown]
	s_or_b32 s3, vcc_lo, s3
	ds_store_b16 v44, v25
	ds_store_b16_d16_hi v43, v25
	ds_store_b16 v45, v24
	ds_store_b16_d16_hi v42, v24
	s_and_not1_b32 exec_lo, exec_lo, s3
	s_cbranch_execnz .LBB1_50
; %bb.51:                               ;   in Loop: Header=BB1_37 Depth=2
	s_or_b32 exec_lo, exec_lo, s3
	v_lshlrev_b16 v18, 5, v22
	v_cmp_ne_u32_e32 vcc_lo, v21, v22
	s_delay_alu instid0(VALU_DEP_2)
	v_or_b32_e32 v23, v18, v5
	s_or_not1_b32 s3, vcc_lo, exec_lo
.LBB1_52:                               ;   in Loop: Header=BB1_37 Depth=2
	s_or_b32 exec_lo, exec_lo, s2
	s_delay_alu instid0(SALU_CYCLE_1) | instskip(SKIP_1) | instid1(SALU_CYCLE_1)
	s_and_not1_b32 s2, s31, exec_lo
	s_and_b32 s3, s3, exec_lo
	s_or_b32 s31, s2, s3
.LBB1_53:                               ;   in Loop: Header=BB1_37 Depth=2
	s_or_b32 exec_lo, exec_lo, s33
	s_delay_alu instid0(SALU_CYCLE_1)
	s_and_b32 exec_lo, exec_lo, s31
	s_cbranch_execz .LBB1_56
; %bb.54:                               ;   in Loop: Header=BB1_37 Depth=2
	s_mov_b32 s2, 0
.LBB1_55:                               ;   Parent Loop BB1_4 Depth=1
                                        ;     Parent Loop BB1_37 Depth=2
                                        ; =>    This Inner Loop Header: Depth=3
	v_add_nc_u16 v18, v23, 1
	v_bfe_i32 v19, v23, 0, 16
	v_add_nc_u16 v23, v23, 32
	s_delay_alu instid0(VALU_DEP_2) | instskip(NEXT) | instid1(VALU_DEP_2)
	v_lshl_add_u32 v19, v19, 1, v28
	v_bfe_i32 v21, v23, 0, 16
	ds_store_b16 v19, v18
	v_cmp_le_i32_e32 vcc_lo, v20, v21
	s_or_b32 s2, vcc_lo, s2
	s_delay_alu instid0(SALU_CYCLE_1)
	s_and_not1_b32 exec_lo, exec_lo, s2
	s_cbranch_execnz .LBB1_55
.LBB1_56:                               ;   in Loop: Header=BB1_37 Depth=2
	s_or_b32 exec_lo, exec_lo, s30
	s_delay_alu instid0(SALU_CYCLE_1)
	s_mov_b32 s2, exec_lo
	v_cmpx_lt_i16_e32 1, v9
	s_cbranch_execz .LBB1_68
; %bb.57:                               ;   in Loop: Header=BB1_37 Depth=2
	s_wait_dscnt 0x0
	v_dual_mov_b32 v19, 0 :: v_dual_mov_b32 v18, v11
	s_mov_b32 s3, 0
	s_mov_b32 s30, 0
	s_branch .LBB1_59
.LBB1_58:                               ;   in Loop: Header=BB1_59 Depth=3
	s_wait_xcnt 0x0
	s_or_b32 exec_lo, exec_lo, s31
	s_add_co_i32 s30, s30, 1
	s_delay_alu instid0(SALU_CYCLE_1) | instskip(NEXT) | instid1(SALU_CYCLE_1)
	s_sext_i32_i16 s31, s30
	v_cmp_ge_i32_e32 vcc_lo, s31, v11
	s_or_b32 s3, vcc_lo, s3
	s_delay_alu instid0(SALU_CYCLE_1)
	s_and_not1_b32 exec_lo, exec_lo, s3
	s_cbranch_execz .LBB1_68
.LBB1_59:                               ;   Parent Loop BB1_4 Depth=1
                                        ;     Parent Loop BB1_37 Depth=2
                                        ; =>    This Loop Header: Depth=3
                                        ;         Child Loop BB1_64 Depth 4
	s_and_saveexec_b32 s31, s0
; %bb.60:                               ;   in Loop: Header=BB1_59 Depth=3
	ds_store_b32 v29, v38
; %bb.61:                               ;   in Loop: Header=BB1_59 Depth=3
	s_or_b32 exec_lo, exec_lo, s31
	s_delay_alu instid0(SALU_CYCLE_1)
	s_mov_b32 s31, exec_lo
	v_cmpx_gt_i16_e64 v18, v5
	s_cbranch_execz .LBB1_66
; %bb.62:                               ;   in Loop: Header=BB1_59 Depth=3
	s_wait_dscnt 0x0
	v_bfe_i32 v20, v19, 0, 16
	s_mov_b32 s33, 0
	s_wait_loadcnt 0x0
	s_delay_alu instid0(VALU_DEP_1) | instskip(NEXT) | instid1(VALU_DEP_1)
	v_ashrrev_i32_e32 v21, 31, v20
	v_lshlrev_b64_e32 v[20:21], 2, v[20:21]
	s_delay_alu instid0(VALU_DEP_1)
	v_add_nc_u64_e32 v[22:23], v[12:13], v[20:21]
	v_add_nc_u64_e32 v[24:25], v[14:15], v[20:21]
	global_load_b32 v20, v[22:23], off
	global_load_b32 v21, v[24:25], off
	s_wait_xcnt 0x1
	v_dual_mov_b32 v22, v5 :: v_dual_mov_b32 v23, v5
	s_branch .LBB1_64
.LBB1_63:                               ;   in Loop: Header=BB1_64 Depth=4
	s_or_b32 exec_lo, exec_lo, s34
	v_lshl_add_u32 v22, v25, 9, v22
	v_add_nc_u16 v23, v23, 32
	ds_min_i32 v29, v22
	v_cmp_ge_i16_e32 vcc_lo, v23, v18
	v_bfe_i32 v22, v23, 0, 16
	s_or_b32 s33, vcc_lo, s33
	s_delay_alu instid0(SALU_CYCLE_1)
	s_and_not1_b32 exec_lo, exec_lo, s33
	s_cbranch_execz .LBB1_66
.LBB1_64:                               ;   Parent Loop BB1_4 Depth=1
                                        ;     Parent Loop BB1_37 Depth=2
                                        ;       Parent Loop BB1_59 Depth=3
                                        ; =>      This Inner Loop Header: Depth=4
	s_delay_alu instid0(VALU_DEP_1) | instskip(SKIP_2) | instid1(VALU_DEP_1)
	v_bfe_i32 v23, v23, 0, 16
	s_mov_b32 s34, exec_lo
	s_wait_xcnt 0x0
	v_lshl_add_u32 v24, v23, 1, v28
	ds_load_u16 v42, v24
	v_lshl_add_u32 v24, v23, 2, v27
	ds_load_b32 v25, v24
	s_wait_dscnt 0x1
	v_bfe_i32 v42, v42, 0, 16
	s_delay_alu instid0(VALU_DEP_1) | instskip(NEXT) | instid1(VALU_DEP_1)
	v_ashrrev_i32_e32 v43, 31, v42
	v_lshlrev_b64_e32 v[42:43], 2, v[42:43]
	s_delay_alu instid0(VALU_DEP_1)
	v_add_nc_u64_e32 v[44:45], v[12:13], v[42:43]
	v_add_nc_u64_e32 v[42:43], v[14:15], v[42:43]
	global_load_b32 v46, v[44:45], off
	global_load_b32 v47, v[42:43], off
	s_wait_loadcnt 0x0
	s_wait_xcnt 0x0
	v_dual_sub_nc_u32 v42, v20, v46 :: v_dual_sub_nc_u32 v43, v21, v47
	s_delay_alu instid0(VALU_DEP_1) | instskip(NEXT) | instid1(VALU_DEP_1)
	v_dual_sub_nc_u32 v44, 0, v42 :: v_dual_sub_nc_u32 v45, 0, v43
	v_max_i32_e32 v42, v42, v44
	s_delay_alu instid0(VALU_DEP_2) | instskip(NEXT) | instid1(VALU_DEP_1)
	v_max_i32_e32 v43, v43, v45
	v_add_nc_u32_e32 v42, v43, v42
	s_wait_dscnt 0x0
	s_delay_alu instid0(VALU_DEP_1)
	v_cmpx_gt_i32_e64 v25, v42
	s_cbranch_execz .LBB1_63
; %bb.65:                               ;   in Loop: Header=BB1_64 Depth=4
	v_mov_b32_e32 v25, v42
	v_lshl_add_u32 v43, v23, 1, v30
	ds_store_b32 v24, v42
	ds_store_b16 v43, v19
	s_branch .LBB1_63
.LBB1_66:                               ;   in Loop: Header=BB1_59 Depth=3
	s_or_b32 exec_lo, exec_lo, s31
	s_wait_dscnt 0x0
	ds_load_b32 v19, v29
	v_add_nc_u16 v18, v18, -1
	s_wait_dscnt 0x0
	v_ashrrev_i32_e32 v20, 31, v19
	s_delay_alu instid0(VALU_DEP_1) | instskip(NEXT) | instid1(VALU_DEP_1)
	v_lshrrev_b32_e32 v20, 23, v20
	v_add_nc_u32_e32 v20, v19, v20
	s_delay_alu instid0(VALU_DEP_1) | instskip(NEXT) | instid1(VALU_DEP_1)
	v_and_b32_e32 v20, 0xfe00, v20
	v_sub_nc_u32_e32 v19, v19, v20
	s_wait_loadcnt 0x0
	s_delay_alu instid0(VALU_DEP_1) | instskip(NEXT) | instid1(VALU_DEP_1)
	v_bfe_i32 v21, v19, 0, 16
	v_lshl_add_u32 v20, v21, 1, v28
	ds_load_u16 v19, v20
	s_and_saveexec_b32 s31, s0
	s_cbranch_execz .LBB1_58
; %bb.67:                               ;   in Loop: Header=BB1_59 Depth=3
	v_bfe_i32 v22, v18, 0, 16
	v_lshl_add_u32 v24, v21, 1, v30
	s_sext_i32_i16 s34, s30
	v_lshl_add_u32 v21, v21, 2, v27
	s_ashr_i32 s35, s34, 31
	v_lshlrev_b32_e32 v23, 1, v22
	ds_load_u16 v25, v24
	v_lshl_add_u32 v22, v22, 2, v27
	v_dual_add_nc_u32 v42, v30, v23 :: v_dual_add_nc_u32 v23, v28, v23
	ds_load_b32 v43, v22
	ds_load_u16 v42, v42
	ds_load_u16 v44, v23
	v_lshl_add_u64 v[22:23], s[34:35], 2, v[16:17]
	s_wait_dscnt 0x3
	v_perm_b32 v25, v19, v25, 0x5040100
	global_store_b32 v[22:23], v25, off
	s_wait_dscnt 0x2
	ds_store_b32 v21, v43
	s_wait_dscnt 0x2
	ds_store_b16 v24, v42
	s_wait_dscnt 0x2
	ds_store_b16 v20, v44
	s_branch .LBB1_58
.LBB1_68:                               ;   in Loop: Header=BB1_37 Depth=2
	s_or_b32 exec_lo, exec_lo, s2
	v_cmp_gt_i16_e32 vcc_lo, v9, v5
	s_and_saveexec_b32 s3, vcc_lo
	s_cbranch_execz .LBB1_72
; %bb.69:                               ;   in Loop: Header=BB1_37 Depth=2
	v_and_b32_e32 v2, 0xffff, v9
	v_dual_mov_b32 v11, v37 :: v_dual_mov_b32 v18, v5
	s_mov_b32 s30, 0
.LBB1_70:                               ;   Parent Loop BB1_4 Depth=1
                                        ;     Parent Loop BB1_37 Depth=2
                                        ; =>    This Inner Loop Header: Depth=3
	s_delay_alu instid0(VALU_DEP_1) | instskip(SKIP_4) | instid1(SALU_CYCLE_1)
	v_add_nc_u32_e32 v18, 32, v18
	ds_store_b32 v11, v3
	v_add_nc_u32_e32 v11, 0x80, v11
	v_cmp_ge_u32_e64 s2, v18, v2
	s_or_b32 s30, s2, s30
	s_and_not1_b32 exec_lo, exec_lo, s30
	s_cbranch_execnz .LBB1_70
; %bb.71:                               ;   in Loop: Header=BB1_37 Depth=2
	s_or_b32 exec_lo, exec_lo, s30
	v_add_nc_u32_e32 v11, -1, v2
.LBB1_72:                               ;   in Loop: Header=BB1_37 Depth=2
	s_or_b32 exec_lo, exec_lo, s3
	s_delay_alu instid0(SALU_CYCLE_1) | instskip(NEXT) | instid1(VALU_DEP_1)
	s_mov_b32 s3, exec_lo
	v_cmpx_gt_i32_e64 v11, v5
	s_cbranch_execz .LBB1_79
; %bb.73:                               ;   in Loop: Header=BB1_37 Depth=2
	v_mov_b32_e32 v22, v5
	s_mov_b32 s30, 0
	s_branch .LBB1_75
.LBB1_74:                               ;   in Loop: Header=BB1_75 Depth=3
	s_or_b32 exec_lo, exec_lo, s2
	v_add_nc_u16 v22, v22, 32
	s_delay_alu instid0(VALU_DEP_1) | instskip(NEXT) | instid1(VALU_DEP_1)
	v_bfe_i32 v18, v22, 0, 16
	v_cmp_le_i32_e64 s2, v11, v18
	s_or_b32 s30, s2, s30
	s_delay_alu instid0(SALU_CYCLE_1)
	s_and_not1_b32 exec_lo, exec_lo, s30
	s_cbranch_execz .LBB1_79
.LBB1_75:                               ;   Parent Loop BB1_4 Depth=1
                                        ;     Parent Loop BB1_37 Depth=2
                                        ; =>    This Inner Loop Header: Depth=3
	s_delay_alu instid0(VALU_DEP_1) | instskip(SKIP_1) | instid1(VALU_DEP_1)
	v_bfe_i32 v24, v22, 0, 16
	s_mov_b32 s33, exec_lo
	v_ashrrev_i32_e32 v25, 31, v24
	s_wait_dscnt 0x0
	s_delay_alu instid0(VALU_DEP_1)
	v_lshl_add_u64 v[18:19], v[24:25], 2, v[16:17]
	v_lshl_add_u32 v24, v24, 2, v27
	global_load_b32 v19, v[18:19], off
	s_wait_loadcnt 0x0
	s_wait_xcnt 0x0
	v_lshrrev_b32_e32 v18, 16, v19
	v_bfe_i32 v20, v19, 0, 16
	s_delay_alu instid0(VALU_DEP_2) | instskip(NEXT) | instid1(VALU_DEP_1)
	v_bfe_i32 v18, v18, 0, 16
	v_dual_ashrrev_i32 v21, 31, v20 :: v_dual_ashrrev_i32 v19, 31, v18
	s_delay_alu instid0(VALU_DEP_1) | instskip(NEXT) | instid1(VALU_DEP_2)
	v_lshl_add_u64 v[44:45], v[20:21], 2, v[12:13]
	v_lshl_add_u64 v[42:43], v[18:19], 2, v[12:13]
	s_clause 0x1
	global_load_b32 v23, v[42:43], off
	global_load_b32 v25, v[44:45], off
	ds_store_b32 v24, v39
	s_wait_loadcnt 0x0
	v_cmp_ne_u32_e64 s31, v23, v25
	s_wait_xcnt 0x0
	v_cmpx_eq_u32_e64 v23, v25
	s_cbranch_execz .LBB1_77
; %bb.76:                               ;   in Loop: Header=BB1_75 Depth=3
	v_lshl_add_u64 v[24:25], v[18:19], 2, v[14:15]
	v_lshl_add_u64 v[42:43], v[20:21], 2, v[14:15]
	s_and_not1_b32 s31, s31, exec_lo
	s_clause 0x1
	global_load_b32 v19, v[24:25], off
	global_load_b32 v21, v[42:43], off
	s_wait_loadcnt 0x0
	v_cmp_ne_u32_e64 s2, v19, v21
	s_and_b32 s2, s2, exec_lo
	s_delay_alu instid0(SALU_CYCLE_1)
	s_or_b32 s31, s31, s2
.LBB1_77:                               ;   in Loop: Header=BB1_75 Depth=3
	s_wait_xcnt 0x0
	s_or_b32 exec_lo, exec_lo, s33
	s_and_saveexec_b32 s2, s31
	s_cbranch_execz .LBB1_74
; %bb.78:                               ;   in Loop: Header=BB1_75 Depth=3
	v_lshl_add_u32 v19, v20, 2, v31
	ds_add_rtn_u32 v19, v19, v40
	s_wait_dscnt 0x0
	v_dual_lshlrev_b32 v20, 4, v20 :: v_dual_lshlrev_b32 v19, 1, v19
	s_delay_alu instid0(VALU_DEP_1)
	v_add3_u32 v19, v32, v20, v19
	v_lshl_add_u32 v20, v18, 2, v31
	ds_store_b16 v19, v22
	ds_add_rtn_u32 v19, v20, v40
	s_wait_dscnt 0x0
	v_dual_lshlrev_b32 v18, 4, v18 :: v_dual_lshlrev_b32 v19, 1, v19
	s_delay_alu instid0(VALU_DEP_1)
	v_add3_u32 v18, v32, v18, v19
	ds_store_b16 v18, v22
	s_branch .LBB1_74
.LBB1_79:                               ;   in Loop: Header=BB1_37 Depth=2
	s_or_b32 exec_lo, exec_lo, s3
	s_and_saveexec_b32 s2, vcc_lo
	s_cbranch_execz .LBB1_94
; %bb.80:                               ;   in Loop: Header=BB1_37 Depth=2
	v_mov_b32_e32 v11, v5
	s_mov_b32 s3, 0
	s_branch .LBB1_82
.LBB1_81:                               ;   in Loop: Header=BB1_82 Depth=3
	s_or_b32 exec_lo, exec_lo, s30
	v_add_nc_u16 v11, v18, 32
	s_delay_alu instid0(VALU_DEP_1) | instskip(SKIP_1) | instid1(SALU_CYCLE_1)
	v_cmp_ge_i16_e32 vcc_lo, v11, v9
	s_or_b32 s3, vcc_lo, s3
	s_and_not1_b32 exec_lo, exec_lo, s3
	s_cbranch_execz .LBB1_94
.LBB1_82:                               ;   Parent Loop BB1_4 Depth=1
                                        ;     Parent Loop BB1_37 Depth=2
                                        ; =>    This Loop Header: Depth=3
                                        ;         Child Loop BB1_85 Depth 4
                                        ;           Child Loop BB1_90 Depth 5
	s_delay_alu instid0(VALU_DEP_1) | instskip(SKIP_1) | instid1(VALU_DEP_1)
	v_bfe_i32 v18, v11, 0, 16
	s_mov_b32 s30, exec_lo
	v_lshl_add_u32 v11, v18, 2, v31
	ds_load_b32 v11, v11
	s_wait_dscnt 0x0
	v_cmpx_lt_i32_e32 1, v11
	s_cbranch_execz .LBB1_81
; %bb.83:                               ;   in Loop: Header=BB1_82 Depth=3
	v_dual_ashrrev_i32 v19, 31, v18 :: v_dual_add_nc_u32 v44, -1, v11
	v_lshl_add_u32 v43, v18, 4, v32
	s_mov_b32 s31, 0
	s_mov_b32 s33, 0
	s_wait_loadcnt 0x0
	v_lshlrev_b64_e32 v[20:21], 2, v[18:19]
	s_delay_alu instid0(VALU_DEP_1)
	v_add_nc_u64_e32 v[22:23], v[12:13], v[20:21]
	v_add_nc_u64_e32 v[20:21], v[14:15], v[20:21]
	global_load_b32 v19, v[22:23], off
	global_load_b32 v42, v[20:21], off
	s_branch .LBB1_85
.LBB1_84:                               ;   in Loop: Header=BB1_85 Depth=4
	s_or_b32 exec_lo, exec_lo, s35
	v_cmp_ge_i32_e32 vcc_lo, s34, v44
	s_or_b32 s33, vcc_lo, s33
	s_delay_alu instid0(SALU_CYCLE_1)
	s_and_not1_b32 exec_lo, exec_lo, s33
	s_cbranch_execz .LBB1_81
.LBB1_85:                               ;   Parent Loop BB1_4 Depth=1
                                        ;     Parent Loop BB1_37 Depth=2
                                        ;       Parent Loop BB1_82 Depth=3
                                        ; =>      This Loop Header: Depth=4
                                        ;           Child Loop BB1_90 Depth 5
	s_sext_i32_i8 s34, s31
	s_wait_xcnt 0x0
	v_lshl_add_u32 v20, s34, 1, v43
	s_mov_b32 s34, exec_lo
	ds_load_u16 v20, v20
	s_wait_dscnt 0x0
	v_bfe_i32 v20, v20, 0, 16
	s_wait_loadcnt 0x0
	s_delay_alu instid0(VALU_DEP_1) | instskip(NEXT) | instid1(VALU_DEP_1)
	v_ashrrev_i32_e32 v21, 31, v20
	v_lshl_add_u64 v[22:23], v[20:21], 2, v[16:17]
	global_load_u16 v21, v[22:23], off
	s_wait_loadcnt 0x0
	s_wait_xcnt 0x0
	v_cmpx_eq_u16_e64 v18, v21
	s_cbranch_execz .LBB1_87
; %bb.86:                               ;   in Loop: Header=BB1_85 Depth=4
	global_load_u16 v21, v[22:23], off offset:2
.LBB1_87:                               ;   in Loop: Header=BB1_85 Depth=4
	s_wait_xcnt 0x0
	s_or_b32 exec_lo, exec_lo, s34
	s_add_co_i32 s31, s31, 1
	s_mov_b32 s35, exec_lo
	s_sext_i32_i8 s34, s31
	s_delay_alu instid0(SALU_CYCLE_1)
	v_cmpx_lt_i32_e64 s34, v11
	s_cbranch_execz .LBB1_84
; %bb.88:                               ;   in Loop: Header=BB1_85 Depth=4
	s_wait_loadcnt 0x0
	v_bfe_i32 v22, v21, 0, 16
	v_lshl_add_u32 v48, v20, 2, v27
	s_mov_b32 s36, 0
	s_mov_b32 s37, s31
	s_delay_alu instid0(VALU_DEP_2) | instskip(NEXT) | instid1(VALU_DEP_1)
	v_ashrrev_i32_e32 v23, 31, v22
	v_lshlrev_b64_e32 v[22:23], 2, v[22:23]
	s_delay_alu instid0(VALU_DEP_1)
	v_add_nc_u64_e32 v[24:25], v[12:13], v[22:23]
	v_add_nc_u64_e32 v[22:23], v[14:15], v[22:23]
	global_load_b32 v45, v[24:25], off
	global_load_b32 v47, v[22:23], off
	s_wait_loadcnt 0x1
	v_min_i32_e32 v21, v19, v45
	v_max_i32_e32 v45, v19, v45
	s_wait_loadcnt 0x0
	v_min_i32_e32 v46, v42, v47
	v_max_i32_e32 v47, v42, v47
	s_branch .LBB1_90
.LBB1_89:                               ;   in Loop: Header=BB1_90 Depth=5
	s_or_b32 exec_lo, exec_lo, s38
	s_add_co_i32 s37, s37, 1
	s_delay_alu instid0(SALU_CYCLE_1) | instskip(NEXT) | instid1(SALU_CYCLE_1)
	s_sext_i32_i8 s38, s37
	v_cmp_ge_i32_e32 vcc_lo, s38, v11
	s_or_b32 s36, vcc_lo, s36
	s_delay_alu instid0(SALU_CYCLE_1)
	s_and_not1_b32 exec_lo, exec_lo, s36
	s_cbranch_execz .LBB1_84
.LBB1_90:                               ;   Parent Loop BB1_4 Depth=1
                                        ;     Parent Loop BB1_37 Depth=2
                                        ;       Parent Loop BB1_82 Depth=3
                                        ;         Parent Loop BB1_85 Depth=4
                                        ; =>        This Inner Loop Header: Depth=5
	s_sext_i32_i8 s38, s37
	s_wait_xcnt 0x0
	v_lshl_add_u32 v22, s38, 1, v43
	s_mov_b32 s38, exec_lo
	ds_load_u16 v22, v22
	s_wait_dscnt 0x0
	v_bfe_i32 v22, v22, 0, 16
	s_delay_alu instid0(VALU_DEP_1) | instskip(NEXT) | instid1(VALU_DEP_1)
	v_ashrrev_i32_e32 v23, 31, v22
	v_lshl_add_u64 v[24:25], v[22:23], 2, v[16:17]
	global_load_u16 v23, v[24:25], off
	s_wait_loadcnt 0x0
	s_wait_xcnt 0x0
	v_cmpx_eq_u16_e64 v18, v23
	s_cbranch_execz .LBB1_92
; %bb.91:                               ;   in Loop: Header=BB1_90 Depth=5
	global_load_u16 v23, v[24:25], off offset:2
.LBB1_92:                               ;   in Loop: Header=BB1_90 Depth=5
	s_wait_xcnt 0x0
	s_or_b32 exec_lo, exec_lo, s38
	s_wait_loadcnt 0x0
	v_bfe_i32 v24, v23, 0, 16
	s_mov_b32 s38, exec_lo
	s_delay_alu instid0(VALU_DEP_1) | instskip(NEXT) | instid1(VALU_DEP_1)
	v_ashrrev_i32_e32 v25, 31, v24
	v_lshlrev_b64_e32 v[24:25], 2, v[24:25]
	s_delay_alu instid0(VALU_DEP_1)
	v_add_nc_u64_e32 v[50:51], v[12:13], v[24:25]
	v_add_nc_u64_e32 v[24:25], v[14:15], v[24:25]
	global_load_b32 v23, v[50:51], off
	global_load_b32 v49, v[24:25], off
	s_wait_loadcnt 0x1
	v_minmax_i32 v23, v45, v23, v21
	s_wait_loadcnt 0x0
	v_minmax_i32 v24, v47, v49, v46
	s_delay_alu instid0(VALU_DEP_1) | instskip(NEXT) | instid1(VALU_DEP_1)
	v_dual_sub_nc_u32 v23, v23, v19 :: v_dual_sub_nc_u32 v24, v24, v42
	v_dual_sub_nc_u32 v25, 0, v23 :: v_dual_sub_nc_u32 v49, 0, v24
	s_delay_alu instid0(VALU_DEP_1) | instskip(NEXT) | instid1(VALU_DEP_2)
	v_max_i32_e32 v23, v23, v25
	v_max_i32_e32 v24, v24, v49
	s_delay_alu instid0(VALU_DEP_1) | instskip(NEXT) | instid1(VALU_DEP_1)
	v_add_nc_u32_e32 v23, v24, v23
	v_cmpx_ne_u32_e32 0, v23
	s_cbranch_execz .LBB1_89
; %bb.93:                               ;   in Loop: Header=BB1_90 Depth=5
	v_lshlrev_b32_e32 v23, 9, v23
	v_lshl_add_u32 v24, v22, 2, v27
	s_delay_alu instid0(VALU_DEP_2)
	v_dual_add_nc_u32 v22, v23, v22 :: v_dual_add_nc_u32 v23, v23, v20
	ds_max_i32 v48, v22
	ds_max_i32 v24, v23
	s_branch .LBB1_89
.LBB1_94:                               ;   in Loop: Header=BB1_37 Depth=2
	s_or_b32 exec_lo, exec_lo, s2
	v_dual_mov_b32 v2, v9 :: v_dual_add_nc_u32 v11, -2, v2
	v_mov_b32_e32 v18, v5
	s_mov_b32 s2, 0
                                        ; implicit-def: $vgpr19
                                        ; implicit-def: $vgpr20
	s_branch .LBB1_97
.LBB1_95:                               ;   in Loop: Header=BB1_97 Depth=3
	s_wait_xcnt 0x0
	s_or_b32 exec_lo, exec_lo, s30
	s_bcnt1_i32_b32 s30, vcc_lo
	v_add_nc_u16 v18, v18, 32
	v_add_nc_u16 v2, v9, s30
	s_mov_b32 s30, 0
.LBB1_96:                               ;   in Loop: Header=BB1_97 Depth=3
	s_and_not1_b32 s31, s3, exec_lo
	s_and_b32 s2, s2, exec_lo
	s_and_b32 vcc_lo, exec_lo, s30
	s_or_b32 s2, s31, s2
	s_cbranch_vccnz .LBB1_36
.LBB1_97:                               ;   Parent Loop BB1_4 Depth=1
                                        ;     Parent Loop BB1_37 Depth=2
                                        ; =>    This Inner Loop Header: Depth=3
	s_delay_alu instid0(VALU_DEP_1) | instskip(SKIP_2) | instid1(VALU_DEP_2)
	v_bfe_i32 v18, v18, 0, 16
	v_mov_b32_e32 v9, v2
	s_mov_b32 s3, s2
	v_cmp_gt_i32_e32 vcc_lo, v11, v18
	s_cbranch_vccz .LBB1_110
; %bb.98:                               ;   in Loop: Header=BB1_97 Depth=3
	s_mov_b32 s31, 0
	s_mov_b32 s2, s3
	s_and_saveexec_b32 s30, vcc_lo
	s_cbranch_execz .LBB1_108
; %bb.99:                               ;   in Loop: Header=BB1_97 Depth=3
	v_lshl_add_u32 v2, v18, 2, v27
	s_mov_b32 s33, 0
	s_mov_b32 s34, s3
	s_wait_loadcnt 0x0
	ds_load_b32 v21, v2
	s_wait_dscnt 0x0
	v_and_b32_e32 v2, 0x1ff, v21
	v_cmp_lt_i32_e32 vcc_lo, 0, v21
	s_delay_alu instid0(VALU_DEP_2) | instskip(SKIP_1) | instid1(SALU_CYCLE_1)
	v_cmp_gt_i32_e64 s2, v2, v18
	s_and_b32 s2, vcc_lo, s2
	s_and_saveexec_b32 s31, s2
	s_cbranch_execz .LBB1_107
; %bb.100:                              ;   in Loop: Header=BB1_97 Depth=3
	v_lshl_add_u32 v21, v2, 2, v27
	s_mov_b32 s2, 0
	s_mov_b32 s34, s3
	s_mov_b32 s33, exec_lo
	ds_load_b32 v21, v21
	s_wait_dscnt 0x0
	v_ashrrev_i32_e32 v22, 31, v21
	s_delay_alu instid0(VALU_DEP_1) | instskip(NEXT) | instid1(VALU_DEP_1)
	v_lshrrev_b32_e32 v22, 23, v22
	v_add_nc_u32_e32 v22, v21, v22
	s_delay_alu instid0(VALU_DEP_1) | instskip(NEXT) | instid1(VALU_DEP_1)
	v_and_b32_e32 v22, 0xfffffe00, v22
	v_sub_nc_u32_e32 v21, v21, v22
	s_delay_alu instid0(VALU_DEP_1)
	v_cmpx_eq_u32_e64 v21, v18
	s_cbranch_execz .LBB1_106
; %bb.101:                              ;   in Loop: Header=BB1_97 Depth=3
	v_lshlrev_b32_e32 v2, 2, v2
	v_ashrrev_i32_e32 v19, 31, v18
	s_delay_alu instid0(VALU_DEP_2) | instskip(NEXT) | instid1(VALU_DEP_2)
	v_add_nc_u64_e32 v[20:21], v[16:17], v[2:3]
	v_lshl_add_u64 v[22:23], v[18:19], 2, v[16:17]
	s_clause 0x1
	global_load_b32 v2, v[22:23], off
	global_load_u16 v19, v[20:21], off
	s_wait_loadcnt 0x1
	s_wait_xcnt 0x1
	v_bfe_i32 v22, v2, 0, 16
	s_wait_loadcnt 0x0
	v_bfe_i32 v24, v19, 0, 16
	v_lshrrev_b32_e32 v2, 16, v2
	s_delay_alu instid0(VALU_DEP_2) | instskip(NEXT) | instid1(VALU_DEP_2)
	v_dual_ashrrev_i32 v23, 31, v22 :: v_dual_ashrrev_i32 v25, 31, v24
	v_bfe_i32 v42, v2, 0, 16
	s_delay_alu instid0(VALU_DEP_2) | instskip(NEXT) | instid1(VALU_DEP_3)
	v_lshlrev_b64_e32 v[22:23], 2, v[22:23]
	v_lshlrev_b64_e32 v[24:25], 2, v[24:25]
	s_delay_alu instid0(VALU_DEP_3) | instskip(NEXT) | instid1(VALU_DEP_1)
	v_ashrrev_i32_e32 v43, 31, v42
	v_lshlrev_b64_e32 v[42:43], 2, v[42:43]
	s_delay_alu instid0(VALU_DEP_4)
	v_add_nc_u64_e32 v[44:45], v[12:13], v[22:23]
	v_add_nc_u64_e32 v[46:47], v[14:15], v[22:23]
	;; [unrolled: 1-line block ×4, first 2 shown]
	global_load_b32 v2, v[44:45], off
	global_load_b32 v22, v[46:47], off
	global_load_b32 v24, v[48:49], off
	global_load_b32 v25, v[50:51], off
	s_wait_xcnt 0x3
	v_add_nc_u64_e32 v[44:45], v[12:13], v[42:43]
	v_add_nc_u64_e32 v[42:43], v[14:15], v[42:43]
	global_load_b32 v19, v[44:45], off
	global_load_b32 v23, v[42:43], off
	s_wait_loadcnt 0x3
	v_cmp_eq_u32_e32 vcc_lo, v24, v2
	s_wait_loadcnt 0x2
	v_cmp_eq_u32_e64 s2, v25, v22
	s_and_b32 s34, vcc_lo, s2
	s_delay_alu instid0(SALU_CYCLE_1)
	s_xor_b32 s2, s34, -1
	s_wait_xcnt 0x0
	s_and_saveexec_b32 s35, s2
	s_cbranch_execz .LBB1_103
; %bb.102:                              ;   in Loop: Header=BB1_97 Depth=3
	s_wait_loadcnt 0x1
	v_cmp_eq_u32_e32 vcc_lo, v24, v19
	s_wait_loadcnt 0x0
	v_cmp_eq_u32_e64 s2, v25, v23
	s_and_not1_b32 s34, s34, exec_lo
	s_and_b32 s2, vcc_lo, s2
	s_delay_alu instid0(SALU_CYCLE_1) | instskip(NEXT) | instid1(SALU_CYCLE_1)
	s_and_b32 s2, s2, exec_lo
	s_or_b32 s34, s34, s2
.LBB1_103:                              ;   in Loop: Header=BB1_97 Depth=3
	s_or_b32 exec_lo, exec_lo, s35
	s_and_saveexec_b32 s2, s34
	s_cbranch_execz .LBB1_105
; %bb.104:                              ;   in Loop: Header=BB1_97 Depth=3
	global_load_u16 v20, v[20:21], off offset:2
	s_wait_loadcnt 0x0
	v_bfe_i32 v20, v20, 0, 16
	s_delay_alu instid0(VALU_DEP_1) | instskip(NEXT) | instid1(VALU_DEP_1)
	v_ashrrev_i32_e32 v21, 31, v20
	v_lshlrev_b64_e32 v[20:21], 2, v[20:21]
	s_delay_alu instid0(VALU_DEP_1)
	v_add_nc_u64_e32 v[42:43], v[12:13], v[20:21]
	v_add_nc_u64_e32 v[20:21], v[14:15], v[20:21]
	global_load_b32 v24, v[42:43], off
	global_load_b32 v25, v[20:21], off
.LBB1_105:                              ;   in Loop: Header=BB1_97 Depth=3
	s_wait_xcnt 0x0
	s_or_b32 exec_lo, exec_lo, s2
	s_wait_loadcnt 0x1
	v_med3_i32 v19, v2, v19, v24
	s_wait_loadcnt 0x0
	v_med3_i32 v20, v22, v23, v25
	s_mov_b32 s2, exec_lo
	s_or_b32 s34, s3, exec_lo
.LBB1_106:                              ;   in Loop: Header=BB1_97 Depth=3
	s_or_b32 exec_lo, exec_lo, s33
	s_delay_alu instid0(SALU_CYCLE_1) | instskip(SKIP_1) | instid1(SALU_CYCLE_1)
	s_and_not1_b32 s33, s3, exec_lo
	s_and_b32 s34, s34, exec_lo
	s_or_b32 s34, s33, s34
	s_and_b32 s33, s2, exec_lo
.LBB1_107:                              ;   in Loop: Header=BB1_97 Depth=3
	s_or_b32 exec_lo, exec_lo, s31
	s_delay_alu instid0(SALU_CYCLE_1)
	s_and_not1_b32 s2, s3, exec_lo
	s_and_b32 s34, s34, exec_lo
	s_and_b32 s31, s33, exec_lo
	s_or_b32 s2, s2, s34
.LBB1_108:                              ;   in Loop: Header=BB1_97 Depth=3
	s_or_b32 exec_lo, exec_lo, s30
	v_cndmask_b32_e64 v2, 0, 1, s31
	s_delay_alu instid0(VALU_DEP_1)
	v_cmp_ne_u32_e32 vcc_lo, 0, v2
	s_and_saveexec_b32 s30, s31
	s_cbranch_execz .LBB1_95
; %bb.109:                              ;   in Loop: Header=BB1_97 Depth=3
	v_bfe_i32 v22, v9, 0, 16
	s_delay_alu instid0(VALU_DEP_1) | instskip(NEXT) | instid1(VALU_DEP_1)
	v_dual_ashrrev_i32 v23, 31, v22 :: v_dual_bitop2_b32 v2, vcc_lo, v4 bitop3:0x40
	v_bcnt_u32_b32 v2, v2, 0
	s_delay_alu instid0(VALU_DEP_1) | instskip(NEXT) | instid1(VALU_DEP_1)
	v_add_nc_u64_e32 v[22:23], v[2:3], v[22:23]
	v_lshlrev_b64_e32 v[22:23], 2, v[22:23]
	s_delay_alu instid0(VALU_DEP_1)
	v_add_nc_u64_e32 v[24:25], v[12:13], v[22:23]
	v_add_nc_u64_e32 v[22:23], v[14:15], v[22:23]
	s_wait_dscnt 0x0
	global_store_b32 v[24:25], v19, off
	global_store_b32 v[22:23], v20, off
	s_branch .LBB1_95
.LBB1_110:                              ;   in Loop: Header=BB1_97 Depth=3
	s_mov_b32 s30, -1
                                        ; implicit-def: $sgpr2
                                        ; implicit-def: $vgpr18
                                        ; implicit-def: $vgpr20
                                        ; implicit-def: $vgpr19
                                        ; implicit-def: $vgpr2
	s_branch .LBB1_96
.LBB1_111:                              ;   in Loop: Header=BB1_4 Depth=1
	s_or_b32 exec_lo, exec_lo, s29
	s_delay_alu instid0(SALU_CYCLE_1) | instskip(SKIP_2) | instid1(SALU_CYCLE_1)
	s_and_not1_b32 s27, s27, exec_lo
	s_or_b32 exec_lo, exec_lo, s28
	s_and_saveexec_b32 s2, s27
	s_xor_b32 s2, exec_lo, s2
	s_cbranch_execz .LBB1_2
.LBB1_112:                              ;   in Loop: Header=BB1_4 Depth=1
	s_and_saveexec_b32 s3, s0
	s_delay_alu instid0(SALU_CYCLE_1)
	s_xor_b32 s3, exec_lo, s3
	s_cbranch_execz .LBB1_1
; %bb.113:                              ;   in Loop: Header=BB1_4 Depth=1
	global_store_b32 v10, v41, s[16:17] scale_offset
	s_branch .LBB1_1
.LBB1_114:
	s_or_b32 exec_lo, exec_lo, s19
	s_bfe_u32 s0, ttmp6, 0x4000c
	s_and_b32 s1, ttmp6, 15
	s_add_co_i32 s0, s0, 1
	s_getreg_b32 s2, hwreg(HW_REG_IB_STS2, 6, 4)
	s_mul_i32 s0, ttmp9, s0
	s_delay_alu instid0(SALU_CYCLE_1) | instskip(SKIP_2) | instid1(SALU_CYCLE_1)
	s_add_co_i32 s1, s1, s0
	s_cmp_eq_u32 s2, 0
	s_cselect_b32 s0, ttmp9, s1
	v_or_b32_e32 v0, s0, v0
	s_mov_b32 s0, exec_lo
	s_delay_alu instid0(VALU_DEP_1)
	v_cmpx_eq_u32_e32 0, v0
	s_cbranch_execz .LBB1_116
; %bb.115:
	s_ashr_i32 s1, s18, 31
	s_mov_b32 s0, s18
	s_delay_alu instid0(SALU_CYCLE_1) | instskip(NEXT) | instid1(SALU_CYCLE_1)
	s_lshl_b64 s[0:1], s[0:1], 2
	s_add_nc_u64 s[0:1], s[4:5], s[0:1]
	s_load_b32 s0, s[0:1], 0x0
	s_wait_kmcnt 0x0
	s_lshl_b32 s0, s0, 1
	s_delay_alu instid0(SALU_CYCLE_1)
	v_dual_mov_b32 v0, s18 :: v_dual_mov_b32 v1, s0
	global_store_b32 v0, v1, s[10:11] scale_offset
.LBB1_116:
	s_endpgm
	.section	.rodata,"a",@progbits
	.p2align	6, 0x0
	.amdhsa_kernel _ZL14largeNetKernelILi24ELi64EEvPKiS1_S1_PiS2_S2_P4edgeiS2_
		.amdhsa_group_segment_fixed_size 43104
		.amdhsa_private_segment_fixed_size 0
		.amdhsa_kernarg_size 72
		.amdhsa_user_sgpr_count 2
		.amdhsa_user_sgpr_dispatch_ptr 0
		.amdhsa_user_sgpr_queue_ptr 0
		.amdhsa_user_sgpr_kernarg_segment_ptr 1
		.amdhsa_user_sgpr_dispatch_id 0
		.amdhsa_user_sgpr_kernarg_preload_length 0
		.amdhsa_user_sgpr_kernarg_preload_offset 0
		.amdhsa_user_sgpr_private_segment_size 0
		.amdhsa_wavefront_size32 1
		.amdhsa_uses_dynamic_stack 0
		.amdhsa_enable_private_segment 0
		.amdhsa_system_sgpr_workgroup_id_x 1
		.amdhsa_system_sgpr_workgroup_id_y 0
		.amdhsa_system_sgpr_workgroup_id_z 0
		.amdhsa_system_sgpr_workgroup_info 0
		.amdhsa_system_vgpr_workitem_id 0
		.amdhsa_next_free_vgpr 65
		.amdhsa_next_free_sgpr 39
		.amdhsa_named_barrier_count 0
		.amdhsa_reserve_vcc 1
		.amdhsa_float_round_mode_32 0
		.amdhsa_float_round_mode_16_64 0
		.amdhsa_float_denorm_mode_32 3
		.amdhsa_float_denorm_mode_16_64 3
		.amdhsa_fp16_overflow 0
		.amdhsa_memory_ordered 1
		.amdhsa_forward_progress 1
		.amdhsa_inst_pref_size 42
		.amdhsa_round_robin_scheduling 0
		.amdhsa_exception_fp_ieee_invalid_op 0
		.amdhsa_exception_fp_denorm_src 0
		.amdhsa_exception_fp_ieee_div_zero 0
		.amdhsa_exception_fp_ieee_overflow 0
		.amdhsa_exception_fp_ieee_underflow 0
		.amdhsa_exception_fp_ieee_inexact 0
		.amdhsa_exception_int_div_zero 0
	.end_amdhsa_kernel
	.section	.text._ZL14largeNetKernelILi24ELi64EEvPKiS1_S1_PiS2_S2_P4edgeiS2_,"axG",@progbits,_ZL14largeNetKernelILi24ELi64EEvPKiS1_S1_PiS2_S2_P4edgeiS2_,comdat
.Lfunc_end1:
	.size	_ZL14largeNetKernelILi24ELi64EEvPKiS1_S1_PiS2_S2_P4edgeiS2_, .Lfunc_end1-_ZL14largeNetKernelILi24ELi64EEvPKiS1_S1_PiS2_S2_P4edgeiS2_
                                        ; -- End function
	.set _ZL14largeNetKernelILi24ELi64EEvPKiS1_S1_PiS2_S2_P4edgeiS2_.num_vgpr, 52
	.set _ZL14largeNetKernelILi24ELi64EEvPKiS1_S1_PiS2_S2_P4edgeiS2_.num_agpr, 0
	.set _ZL14largeNetKernelILi24ELi64EEvPKiS1_S1_PiS2_S2_P4edgeiS2_.numbered_sgpr, 39
	.set _ZL14largeNetKernelILi24ELi64EEvPKiS1_S1_PiS2_S2_P4edgeiS2_.num_named_barrier, 0
	.set _ZL14largeNetKernelILi24ELi64EEvPKiS1_S1_PiS2_S2_P4edgeiS2_.private_seg_size, 0
	.set _ZL14largeNetKernelILi24ELi64EEvPKiS1_S1_PiS2_S2_P4edgeiS2_.uses_vcc, 1
	.set _ZL14largeNetKernelILi24ELi64EEvPKiS1_S1_PiS2_S2_P4edgeiS2_.uses_flat_scratch, 0
	.set _ZL14largeNetKernelILi24ELi64EEvPKiS1_S1_PiS2_S2_P4edgeiS2_.has_dyn_sized_stack, 0
	.set _ZL14largeNetKernelILi24ELi64EEvPKiS1_S1_PiS2_S2_P4edgeiS2_.has_recursion, 0
	.set _ZL14largeNetKernelILi24ELi64EEvPKiS1_S1_PiS2_S2_P4edgeiS2_.has_indirect_call, 0
	.section	.AMDGPU.csdata,"",@progbits
; Kernel info:
; codeLenInByte = 5312
; TotalNumSgprs: 41
; NumVgprs: 52
; ScratchSize: 0
; MemoryBound: 0
; FloatMode: 240
; IeeeMode: 1
; LDSByteSize: 43104 bytes/workgroup (compile time only)
; SGPRBlocks: 0
; VGPRBlocks: 4
; NumSGPRsForWavesPerEU: 41
; NumVGPRsForWavesPerEU: 65
; NamedBarCnt: 0
; Occupancy: 12
; WaveLimiterHint : 1
; COMPUTE_PGM_RSRC2:SCRATCH_EN: 0
; COMPUTE_PGM_RSRC2:USER_SGPR: 2
; COMPUTE_PGM_RSRC2:TRAP_HANDLER: 0
; COMPUTE_PGM_RSRC2:TGID_X_EN: 1
; COMPUTE_PGM_RSRC2:TGID_Y_EN: 0
; COMPUTE_PGM_RSRC2:TGID_Z_EN: 0
; COMPUTE_PGM_RSRC2:TIDIG_COMP_CNT: 0
	.section	.text._ZL14smallNetKernelILi3ELi512EEvPKiPiS2_P4edgeS2_,"axG",@progbits,_ZL14smallNetKernelILi3ELi512EEvPKiPiS2_P4edgeS2_,comdat
	.globl	_ZL14smallNetKernelILi3ELi512EEvPKiPiS2_P4edgeS2_ ; -- Begin function _ZL14smallNetKernelILi3ELi512EEvPKiPiS2_P4edgeS2_
	.p2align	8
	.type	_ZL14smallNetKernelILi3ELi512EEvPKiPiS2_P4edgeS2_,@function
_ZL14smallNetKernelILi3ELi512EEvPKiPiS2_P4edgeS2_: ; @_ZL14smallNetKernelILi3ELi512EEvPKiPiS2_P4edgeS2_
; %bb.0:
	v_dual_mov_b32 v1, 0 :: v_dual_lshrrev_b32 v6, 5, v0
	v_and_b32_e32 v3, 31, v0
	s_get_pc_i64 s[2:3]
	s_add_nc_u64 s[2:3], s[2:3], _ZL6wlsize@rel64+4
	s_clause 0x1
	s_load_b256 s[4:11], s[0:1], 0x0
	s_load_b64 s[12:13], s[0:1], 0x20
	v_bitop3_b32 v27, v0, 31, v0 bitop3:0x3f
	s_load_b32 s3, s[2:3], 0x0
	v_lshlrev_b32_e32 v7, 11, v6
	v_lshlrev_b64_e64 v[4:5], v3, -1
	v_dual_lshlrev_b32 v2, 10, v6 :: v_dual_lshlrev_b32 v25, 13, v6
	v_lshl_or_b32 v20, v6, 2, 0xa800
	s_delay_alu instid0(VALU_DEP_4) | instskip(SKIP_1) | instid1(VALU_DEP_4)
	v_or_b32_e32 v21, 0x6000, v7
	v_dual_mov_b32 v31, -1 :: v_dual_add_nc_u32 v24, 0x7800, v7
	v_or_b32_e32 v22, 0x9000, v2
	v_dual_mov_b32 v32, 1 :: v_dual_add_nc_u32 v23, 0x9c00, v2
	v_not_b32_e32 v2, v4
	v_perm_b32 v4, v3, v3, 0x5040100
	v_or_b32_e32 v5, 64, v3
	v_or_b32_e32 v6, 0x60, v3
	;; [unrolled: 1-line block ×3, first 2 shown]
	v_lshl_or_b32 v7, v3, 2, v7
	s_wait_xcnt 0x0
	v_cmp_eq_u32_e64 s0, 0, v3
	v_or_b32_e32 v28, 0x200000, v4
	v_perm_b32 v5, v6, v5, 0x5040100
	v_perm_b32 v4, v26, v3, 0x5040100
	v_add_nc_u32_e32 v29, 0x7800, v7
	v_bfrev_b32_e32 v30, -2
	s_mov_b32 s16, 0
	s_get_pc_i64 s[14:15]
	s_add_nc_u64 s[14:15], s[14:15], _ZL8currpos2@rel64+4
                                        ; implicit-def: $vgpr33
	s_branch .LBB2_3
.LBB2_1:                                ;   in Loop: Header=BB2_3 Depth=1
	s_xor_b32 s1, exec_lo, -1
.LBB2_2:                                ;   in Loop: Header=BB2_3 Depth=1
	s_or_b32 exec_lo, exec_lo, s17
	s_delay_alu instid0(SALU_CYCLE_1) | instskip(NEXT) | instid1(SALU_CYCLE_1)
	s_and_b32 s1, exec_lo, s1
	s_or_b32 s16, s1, s16
	s_delay_alu instid0(SALU_CYCLE_1)
	s_and_not1_b32 exec_lo, exec_lo, s16
	s_cbranch_execz .LBB2_84
.LBB2_3:                                ; =>This Loop Header: Depth=1
                                        ;     Child Loop BB2_10 Depth 2
                                        ;       Child Loop BB2_14 Depth 3
                                        ;       Child Loop BB2_19 Depth 3
	;; [unrolled: 1-line block ×5, first 2 shown]
                                        ;         Child Loop BB2_37 Depth 4
                                        ;       Child Loop BB2_43 Depth 3
                                        ;       Child Loop BB2_48 Depth 3
	;; [unrolled: 1-line block ×3, first 2 shown]
                                        ;         Child Loop BB2_58 Depth 4
                                        ;           Child Loop BB2_63 Depth 5
                                        ;       Child Loop BB2_70 Depth 3
	s_and_saveexec_b32 s1, s0
	s_cbranch_execz .LBB2_7
; %bb.4:                                ;   in Loop: Header=BB2_3 Depth=1
	s_mov_b32 s17, exec_lo
	s_mov_b32 s2, exec_lo
	v_mbcnt_lo_u32_b32 v0, s17, 0
                                        ; implicit-def: $vgpr6
	s_delay_alu instid0(VALU_DEP_1)
	v_cmpx_eq_u32_e32 0, v0
	s_cbranch_execz .LBB2_6
; %bb.5:                                ;   in Loop: Header=BB2_3 Depth=1
	s_bcnt1_i32_b32 s17, s17
	s_delay_alu instid0(SALU_CYCLE_1)
	v_mov_b32_e32 v6, s17
	global_atomic_add_u32 v6, v1, v6, s[14:15] th:TH_ATOMIC_RETURN scope:SCOPE_DEV
.LBB2_6:                                ;   in Loop: Header=BB2_3 Depth=1
	s_wait_xcnt 0x0
	s_or_b32 exec_lo, exec_lo, s2
	s_wait_loadcnt 0x0
	v_readfirstlane_b32 s2, v6
	s_delay_alu instid0(VALU_DEP_1)
	v_add_nc_u32_e32 v33, s2, v0
.LBB2_7:                                ;   in Loop: Header=BB2_3 Depth=1
	s_or_b32 exec_lo, exec_lo, s1
	ds_bpermute_b32 v33, v1, v33
	s_mov_b32 s1, -1
	s_mov_b32 s17, exec_lo
	s_wait_dscnt 0x0
	s_wait_kmcnt 0x0
	v_cmpx_gt_i32_e64 s3, v33
	s_cbranch_execz .LBB2_2
; %bb.8:                                ;   in Loop: Header=BB2_3 Depth=1
	global_load_b32 v6, v33, s[12:13] scale_offset
	s_wait_loadcnt 0x0
	v_ashrrev_i32_e32 v7, 31, v6
	s_delay_alu instid0(VALU_DEP_1) | instskip(SKIP_4) | instid1(VALU_DEP_1)
	v_lshl_add_u64 v[6:7], v[6:7], 2, s[4:5]
	global_load_b64 v[12:13], v[6:7], off
	s_wait_loadcnt 0x0
	s_wait_xcnt 0x0
	v_dual_lshlrev_b32 v6, 1, v12 :: v_dual_sub_nc_u32 v34, v13, v12
	v_ashrrev_i32_e32 v7, 31, v6
	s_delay_alu instid0(VALU_DEP_1) | instskip(NEXT) | instid1(VALU_DEP_1)
	v_lshlrev_b64_e32 v[10:11], 2, v[6:7]
	v_add_nc_u64_e32 v[6:7], s[6:7], v[10:11]
	v_add_nc_u64_e32 v[8:9], s[8:9], v[10:11]
	v_add_nc_u64_e32 v[10:11], s[10:11], v[10:11]
	s_branch .LBB2_10
.LBB2_9:                                ;   in Loop: Header=BB2_10 Depth=2
	v_cndmask_b32_e64 v0, 0, 1, s2
	s_delay_alu instid0(VALU_DEP_1)
	v_cmp_ne_u32_e32 vcc_lo, 0, v0
	s_cbranch_vccz .LBB2_1
.LBB2_10:                               ;   Parent Loop BB2_3 Depth=1
                                        ; =>  This Loop Header: Depth=2
                                        ;       Child Loop BB2_14 Depth 3
                                        ;       Child Loop BB2_19 Depth 3
	;; [unrolled: 1-line block ×5, first 2 shown]
                                        ;         Child Loop BB2_37 Depth 4
                                        ;       Child Loop BB2_43 Depth 3
                                        ;       Child Loop BB2_48 Depth 3
	;; [unrolled: 1-line block ×3, first 2 shown]
                                        ;         Child Loop BB2_58 Depth 4
                                        ;           Child Loop BB2_63 Depth 5
                                        ;       Child Loop BB2_70 Depth 3
	v_bfe_i32 v0, v34, 0, 16
	s_mov_b32 s18, exec_lo
	s_delay_alu instid0(VALU_DEP_1) | instskip(NEXT) | instid1(VALU_DEP_1)
	v_add_nc_u32_e32 v16, -1, v0
	v_bfe_i32 v14, v16, 0, 16
	s_delay_alu instid0(VALU_DEP_1)
	v_cmpx_gt_i32_e64 v14, v3
	s_cbranch_execz .LBB2_29
; %bb.11:                               ;   in Loop: Header=BB2_10 Depth=2
	v_add_nc_u32_e32 v12, v14, v27
	s_mov_b32 s20, exec_lo
	s_wait_dscnt 0x0
	s_delay_alu instid0(VALU_DEP_1) | instskip(SKIP_1) | instid1(VALU_DEP_1)
	v_dual_mov_b32 v18, v3 :: v_dual_lshrrev_b32 v13, 5, v12
	s_wait_loadcnt 0x0
	v_add_nc_u32_e32 v15, 1, v13
	v_cmp_gt_u32_e64 s19, 0x1a0, v12
	v_lshlrev_b16 v17, 5, v13
	v_cmpx_lt_u32_e32 0x19f, v12
	s_cbranch_execz .LBB2_17
; %bb.12:                               ;   in Loop: Header=BB2_10 Depth=2
	s_delay_alu instid0(VALU_DEP_2) | instskip(SKIP_2) | instid1(VALU_DEP_3)
	v_add_nc_u16 v18, v26, v17
	v_cmp_gt_u16_e32 vcc_lo, 0x800, v13
	v_cmp_gt_u32_e64 s1, 0x200000, v12
	v_cmp_ge_i16_e64 s2, v18, v26
	v_mov_b32_e32 v18, v3
	s_and_b32 s1, vcc_lo, s1
	s_delay_alu instid0(SALU_CYCLE_1)
	s_and_b32 s21, s1, s2
	s_mov_b32 s2, -1
	s_and_saveexec_b32 s1, s21
	s_cbranch_execz .LBB2_16
; %bb.13:                               ;   in Loop: Header=BB2_10 Depth=2
	v_and_b32_e32 v18, 0xffffffe, v15
	s_mov_b32 s2, 0
	s_delay_alu instid0(VALU_DEP_1)
	v_dual_mov_b32 v35, v28 :: v_dual_mov_b32 v19, v18
.LBB2_14:                               ;   Parent Loop BB2_3 Depth=1
                                        ;     Parent Loop BB2_10 Depth=2
                                        ; =>    This Inner Loop Header: Depth=3
	s_delay_alu instid0(VALU_DEP_1) | instskip(NEXT) | instid1(VALU_DEP_2)
	v_add_nc_u32_e32 v19, -2, v19
	v_bfe_i32 v36, v35, 0, 16
	v_ashrrev_i32_e32 v37, 16, v35
	v_pk_add_u16 v35, v35, 64 op_sel_hi:[1,0]
	s_delay_alu instid0(VALU_DEP_4) | instskip(NEXT) | instid1(VALU_DEP_4)
	v_cmp_eq_u32_e32 vcc_lo, 0, v19
	v_lshl_add_u32 v36, v36, 2, v21
	s_delay_alu instid0(VALU_DEP_4) | instskip(SKIP_3) | instid1(SALU_CYCLE_1)
	v_lshl_add_u32 v37, v37, 2, v21
	ds_store_b32 v36, v30
	ds_store_b32 v37, v30
	s_or_b32 s2, vcc_lo, s2
	s_and_not1_b32 exec_lo, exec_lo, s2
	s_cbranch_execnz .LBB2_14
; %bb.15:                               ;   in Loop: Header=BB2_10 Depth=2
	s_or_b32 exec_lo, exec_lo, s2
	v_lshlrev_b16 v19, 5, v18
	v_cmp_ne_u32_e32 vcc_lo, v15, v18
	s_delay_alu instid0(VALU_DEP_2)
	v_or_b32_e32 v18, v19, v3
	s_or_not1_b32 s2, vcc_lo, exec_lo
.LBB2_16:                               ;   in Loop: Header=BB2_10 Depth=2
	s_or_b32 exec_lo, exec_lo, s1
	s_delay_alu instid0(SALU_CYCLE_1) | instskip(SKIP_1) | instid1(SALU_CYCLE_1)
	s_and_not1_b32 s1, s19, exec_lo
	s_and_b32 s2, s2, exec_lo
	s_or_b32 s19, s1, s2
.LBB2_17:                               ;   in Loop: Header=BB2_10 Depth=2
	s_or_b32 exec_lo, exec_lo, s20
	s_and_saveexec_b32 s1, s19
	s_cbranch_execz .LBB2_20
; %bb.18:                               ;   in Loop: Header=BB2_10 Depth=2
	s_mov_b32 s2, 0
.LBB2_19:                               ;   Parent Loop BB2_3 Depth=1
                                        ;     Parent Loop BB2_10 Depth=2
                                        ; =>    This Inner Loop Header: Depth=3
	v_bfe_i32 v19, v18, 0, 16
	v_add_nc_u16 v18, v18, 32
	s_delay_alu instid0(VALU_DEP_2) | instskip(NEXT) | instid1(VALU_DEP_2)
	v_lshl_add_u32 v19, v19, 2, v21
	v_bfe_i32 v35, v18, 0, 16
	ds_store_b32 v19, v30
	v_cmp_le_i32_e32 vcc_lo, v14, v35
	s_or_b32 s2, vcc_lo, s2
	s_delay_alu instid0(SALU_CYCLE_1)
	s_and_not1_b32 exec_lo, exec_lo, s2
	s_cbranch_execnz .LBB2_19
.LBB2_20:                               ;   in Loop: Header=BB2_10 Depth=2
	s_or_b32 exec_lo, exec_lo, s1
	v_cmp_gt_u32_e64 s19, 0x160, v12
	v_mov_b32_e32 v18, v3
	s_mov_b32 s20, exec_lo
	v_cmpx_lt_u32_e32 0x15f, v12
	s_cbranch_execz .LBB2_26
; %bb.21:                               ;   in Loop: Header=BB2_10 Depth=2
	v_add_nc_u16 v17, v26, v17
	v_cmp_gt_u16_e32 vcc_lo, 0x800, v13
	v_cmp_gt_u32_e64 s1, 0x200000, v12
	v_mov_b32_e32 v18, v3
	s_delay_alu instid0(VALU_DEP_4) | instskip(SKIP_1) | instid1(SALU_CYCLE_1)
	v_cmp_ge_i16_e64 s2, v17, v26
	s_and_b32 s1, vcc_lo, s1
	s_and_b32 s21, s1, s2
	s_mov_b32 s2, -1
	s_and_saveexec_b32 s1, s21
	s_cbranch_execz .LBB2_25
; %bb.22:                               ;   in Loop: Header=BB2_10 Depth=2
	v_and_b32_e32 v17, 0xffffffc, v15
	v_mov_b64_e32 v[12:13], v[4:5]
	s_mov_b32 s2, 0
	s_delay_alu instid0(VALU_DEP_2)
	v_mov_b32_e32 v18, v17
.LBB2_23:                               ;   Parent Loop BB2_3 Depth=1
                                        ;     Parent Loop BB2_10 Depth=2
                                        ; =>    This Inner Loop Header: Depth=3
	s_delay_alu instid0(VALU_DEP_1) | instskip(NEXT) | instid1(VALU_DEP_3)
	v_add_nc_u32_e32 v18, -4, v18
	v_bfe_i32 v38, v12, 0, 16
	s_delay_alu instid0(VALU_DEP_4) | instskip(SKIP_1) | instid1(VALU_DEP_4)
	v_bfe_i32 v39, v13, 0, 16
	v_dual_ashrrev_i32 v36, 16, v13 :: v_dual_ashrrev_i32 v37, 16, v12
	v_cmp_eq_u32_e32 vcc_lo, 0, v18
	v_pk_add_u16 v19, v13, 1 op_sel_hi:[1,0]
	v_pk_add_u16 v35, v12, 1 op_sel_hi:[1,0]
	;; [unrolled: 1-line block ×4, first 2 shown]
	v_lshl_add_u32 v38, v38, 1, v22
	v_lshl_add_u32 v39, v39, 1, v22
	;; [unrolled: 1-line block ×4, first 2 shown]
	s_or_b32 s2, vcc_lo, s2
	ds_store_b16 v38, v35
	ds_store_b16_d16_hi v37, v35
	ds_store_b16 v39, v19
	ds_store_b16_d16_hi v36, v19
	s_and_not1_b32 exec_lo, exec_lo, s2
	s_cbranch_execnz .LBB2_23
; %bb.24:                               ;   in Loop: Header=BB2_10 Depth=2
	s_or_b32 exec_lo, exec_lo, s2
	v_lshlrev_b16 v12, 5, v17
	v_cmp_ne_u32_e32 vcc_lo, v15, v17
	s_delay_alu instid0(VALU_DEP_2)
	v_or_b32_e32 v18, v12, v3
	s_or_not1_b32 s2, vcc_lo, exec_lo
.LBB2_25:                               ;   in Loop: Header=BB2_10 Depth=2
	s_or_b32 exec_lo, exec_lo, s1
	s_delay_alu instid0(SALU_CYCLE_1) | instskip(SKIP_1) | instid1(SALU_CYCLE_1)
	s_and_not1_b32 s1, s19, exec_lo
	s_and_b32 s2, s2, exec_lo
	s_or_b32 s19, s1, s2
.LBB2_26:                               ;   in Loop: Header=BB2_10 Depth=2
	s_or_b32 exec_lo, exec_lo, s20
	s_delay_alu instid0(SALU_CYCLE_1)
	s_and_b32 exec_lo, exec_lo, s19
	s_cbranch_execz .LBB2_29
; %bb.27:                               ;   in Loop: Header=BB2_10 Depth=2
	s_mov_b32 s1, 0
.LBB2_28:                               ;   Parent Loop BB2_3 Depth=1
                                        ;     Parent Loop BB2_10 Depth=2
                                        ; =>    This Inner Loop Header: Depth=3
	v_add_nc_u16 v12, v18, 1
	v_bfe_i32 v13, v18, 0, 16
	v_add_nc_u16 v18, v18, 32
	s_delay_alu instid0(VALU_DEP_2) | instskip(NEXT) | instid1(VALU_DEP_2)
	v_lshl_add_u32 v13, v13, 1, v22
	v_bfe_i32 v15, v18, 0, 16
	ds_store_b16 v13, v12
	v_cmp_le_i32_e32 vcc_lo, v14, v15
	s_or_b32 s1, vcc_lo, s1
	s_delay_alu instid0(SALU_CYCLE_1)
	s_and_not1_b32 exec_lo, exec_lo, s1
	s_cbranch_execnz .LBB2_28
.LBB2_29:                               ;   in Loop: Header=BB2_10 Depth=2
	s_or_b32 exec_lo, exec_lo, s18
	s_delay_alu instid0(SALU_CYCLE_1)
	s_mov_b32 s1, exec_lo
	v_cmpx_lt_i16_e32 1, v34
	s_cbranch_execz .LBB2_41
; %bb.30:                               ;   in Loop: Header=BB2_10 Depth=2
	s_wait_dscnt 0x0
	v_dual_mov_b32 v13, 0 :: v_dual_mov_b32 v12, v16
	s_mov_b32 s2, 0
	s_mov_b32 s18, 0
	s_branch .LBB2_32
.LBB2_31:                               ;   in Loop: Header=BB2_32 Depth=3
	s_wait_xcnt 0x0
	s_or_b32 exec_lo, exec_lo, s19
	s_add_co_i32 s18, s18, 1
	s_delay_alu instid0(SALU_CYCLE_1) | instskip(NEXT) | instid1(SALU_CYCLE_1)
	s_sext_i32_i16 s19, s18
	v_cmp_ge_i32_e32 vcc_lo, s19, v16
	s_or_b32 s2, vcc_lo, s2
	s_delay_alu instid0(SALU_CYCLE_1)
	s_and_not1_b32 exec_lo, exec_lo, s2
	s_cbranch_execz .LBB2_41
.LBB2_32:                               ;   Parent Loop BB2_3 Depth=1
                                        ;     Parent Loop BB2_10 Depth=2
                                        ; =>    This Loop Header: Depth=3
                                        ;         Child Loop BB2_37 Depth 4
	s_and_saveexec_b32 s19, s0
; %bb.33:                               ;   in Loop: Header=BB2_32 Depth=3
	ds_store_b32 v20, v30
; %bb.34:                               ;   in Loop: Header=BB2_32 Depth=3
	s_or_b32 exec_lo, exec_lo, s19
	s_delay_alu instid0(SALU_CYCLE_1)
	s_mov_b32 s19, exec_lo
	v_cmpx_gt_i16_e64 v12, v3
	s_cbranch_execz .LBB2_39
; %bb.35:                               ;   in Loop: Header=BB2_32 Depth=3
	s_wait_dscnt 0x0
	v_bfe_i32 v14, v13, 0, 16
	s_mov_b32 s20, 0
	s_wait_loadcnt 0x0
	s_delay_alu instid0(VALU_DEP_1) | instskip(NEXT) | instid1(VALU_DEP_1)
	v_dual_mov_b32 v17, v3 :: v_dual_ashrrev_i32 v15, 31, v14
	v_lshlrev_b64_e32 v[14:15], 2, v[14:15]
	s_delay_alu instid0(VALU_DEP_1)
	v_add_nc_u64_e32 v[18:19], v[6:7], v[14:15]
	v_add_nc_u64_e32 v[36:37], v[8:9], v[14:15]
	global_load_b32 v14, v[18:19], off
	global_load_b32 v15, v[36:37], off
	s_wait_xcnt 0x1
	v_mov_b32_e32 v18, v3
	s_branch .LBB2_37
.LBB2_36:                               ;   in Loop: Header=BB2_37 Depth=4
	s_or_b32 exec_lo, exec_lo, s21
	v_lshl_add_u32 v17, v35, 9, v17
	v_add_nc_u16 v18, v18, 32
	ds_min_i32 v20, v17
	v_cmp_ge_i16_e32 vcc_lo, v18, v12
	v_bfe_i32 v17, v18, 0, 16
	s_or_b32 s20, vcc_lo, s20
	s_delay_alu instid0(SALU_CYCLE_1)
	s_and_not1_b32 exec_lo, exec_lo, s20
	s_cbranch_execz .LBB2_39
.LBB2_37:                               ;   Parent Loop BB2_3 Depth=1
                                        ;     Parent Loop BB2_10 Depth=2
                                        ;       Parent Loop BB2_32 Depth=3
                                        ; =>      This Inner Loop Header: Depth=4
	s_delay_alu instid0(VALU_DEP_1) | instskip(SKIP_1) | instid1(VALU_DEP_1)
	v_bfe_i32 v18, v18, 0, 16
	s_mov_b32 s21, exec_lo
	v_lshl_add_u32 v19, v18, 1, v22
	s_wait_xcnt 0x0
	ds_load_u16 v36, v19
	v_lshl_add_u32 v19, v18, 2, v21
	ds_load_b32 v35, v19
	s_wait_dscnt 0x1
	v_bfe_i32 v36, v36, 0, 16
	s_delay_alu instid0(VALU_DEP_1) | instskip(NEXT) | instid1(VALU_DEP_1)
	v_ashrrev_i32_e32 v37, 31, v36
	v_lshlrev_b64_e32 v[36:37], 2, v[36:37]
	s_delay_alu instid0(VALU_DEP_1)
	v_add_nc_u64_e32 v[38:39], v[6:7], v[36:37]
	v_add_nc_u64_e32 v[36:37], v[8:9], v[36:37]
	global_load_b32 v40, v[38:39], off
	global_load_b32 v41, v[36:37], off
	s_wait_loadcnt 0x0
	s_wait_xcnt 0x0
	v_dual_sub_nc_u32 v36, v14, v40 :: v_dual_sub_nc_u32 v37, v15, v41
	s_delay_alu instid0(VALU_DEP_1) | instskip(NEXT) | instid1(VALU_DEP_1)
	v_dual_sub_nc_u32 v38, 0, v36 :: v_dual_sub_nc_u32 v39, 0, v37
	v_max_i32_e32 v36, v36, v38
	s_delay_alu instid0(VALU_DEP_2) | instskip(NEXT) | instid1(VALU_DEP_1)
	v_max_i32_e32 v37, v37, v39
	v_add_nc_u32_e32 v36, v37, v36
	s_wait_dscnt 0x0
	s_delay_alu instid0(VALU_DEP_1)
	v_cmpx_gt_i32_e64 v35, v36
	s_cbranch_execz .LBB2_36
; %bb.38:                               ;   in Loop: Header=BB2_37 Depth=4
	v_mov_b32_e32 v35, v36
	v_lshl_add_u32 v37, v18, 1, v23
	ds_store_b32 v19, v36
	ds_store_b16 v37, v13
	s_branch .LBB2_36
.LBB2_39:                               ;   in Loop: Header=BB2_32 Depth=3
	s_or_b32 exec_lo, exec_lo, s19
	s_wait_dscnt 0x0
	ds_load_b32 v13, v20
	v_add_nc_u16 v12, v12, -1
	s_wait_dscnt 0x0
	v_ashrrev_i32_e32 v14, 31, v13
	s_delay_alu instid0(VALU_DEP_1) | instskip(NEXT) | instid1(VALU_DEP_1)
	v_lshrrev_b32_e32 v14, 23, v14
	v_add_nc_u32_e32 v14, v13, v14
	s_delay_alu instid0(VALU_DEP_1) | instskip(NEXT) | instid1(VALU_DEP_1)
	v_and_b32_e32 v14, 0xfe00, v14
	v_sub_nc_u32_e32 v13, v13, v14
	s_wait_loadcnt 0x0
	s_delay_alu instid0(VALU_DEP_1) | instskip(NEXT) | instid1(VALU_DEP_1)
	v_bfe_i32 v15, v13, 0, 16
	v_lshl_add_u32 v14, v15, 1, v22
	ds_load_u16 v13, v14
	s_and_saveexec_b32 s19, s0
	s_cbranch_execz .LBB2_31
; %bb.40:                               ;   in Loop: Header=BB2_32 Depth=3
	v_bfe_i32 v17, v12, 0, 16
	v_lshl_add_u32 v35, v15, 1, v23
	s_sext_i32_i16 s20, s18
	v_lshl_add_u32 v15, v15, 2, v21
	s_ashr_i32 s21, s20, 31
	v_lshlrev_b32_e32 v18, 1, v17
	ds_load_u16 v36, v35
	v_lshl_add_u32 v17, v17, 2, v21
	v_dual_add_nc_u32 v19, v23, v18 :: v_dual_add_nc_u32 v18, v22, v18
	ds_load_b32 v17, v17
	ds_load_u16 v37, v19
	ds_load_u16 v38, v18
	v_lshl_add_u64 v[18:19], s[20:21], 2, v[10:11]
	s_wait_dscnt 0x3
	v_perm_b32 v36, v13, v36, 0x5040100
	global_store_b32 v[18:19], v36, off
	s_wait_dscnt 0x2
	ds_store_b32 v15, v17
	s_wait_dscnt 0x2
	ds_store_b16 v35, v37
	s_wait_dscnt 0x2
	ds_store_b16 v14, v38
	s_branch .LBB2_31
.LBB2_41:                               ;   in Loop: Header=BB2_10 Depth=2
	s_or_b32 exec_lo, exec_lo, s1
	v_cmp_gt_i16_e32 vcc_lo, v34, v3
	s_and_saveexec_b32 s2, vcc_lo
	s_cbranch_execz .LBB2_45
; %bb.42:                               ;   in Loop: Header=BB2_10 Depth=2
	v_and_b32_e32 v0, 0xffff, v34
	s_wait_dscnt 0x0
	v_dual_mov_b32 v12, v29 :: v_dual_mov_b32 v13, v3
	s_mov_b32 s18, 0
.LBB2_43:                               ;   Parent Loop BB2_3 Depth=1
                                        ;     Parent Loop BB2_10 Depth=2
                                        ; =>    This Inner Loop Header: Depth=3
	s_delay_alu instid0(VALU_DEP_1) | instskip(SKIP_4) | instid1(SALU_CYCLE_1)
	v_add_nc_u32_e32 v13, 32, v13
	ds_store_b32 v12, v1
	v_add_nc_u32_e32 v12, 0x80, v12
	v_cmp_ge_u32_e64 s1, v13, v0
	s_or_b32 s18, s1, s18
	s_and_not1_b32 exec_lo, exec_lo, s18
	s_cbranch_execnz .LBB2_43
; %bb.44:                               ;   in Loop: Header=BB2_10 Depth=2
	s_or_b32 exec_lo, exec_lo, s18
	v_add_nc_u32_e32 v16, -1, v0
.LBB2_45:                               ;   in Loop: Header=BB2_10 Depth=2
	s_or_b32 exec_lo, exec_lo, s2
	s_delay_alu instid0(SALU_CYCLE_1) | instskip(NEXT) | instid1(VALU_DEP_1)
	s_mov_b32 s2, exec_lo
	v_cmpx_gt_i32_e64 v16, v3
	s_cbranch_execz .LBB2_52
; %bb.46:                               ;   in Loop: Header=BB2_10 Depth=2
	v_mov_b32_e32 v17, v3
	s_mov_b32 s18, 0
	s_branch .LBB2_48
.LBB2_47:                               ;   in Loop: Header=BB2_48 Depth=3
	s_or_b32 exec_lo, exec_lo, s1
	v_add_nc_u16 v17, v17, 32
	s_delay_alu instid0(VALU_DEP_1) | instskip(NEXT) | instid1(VALU_DEP_1)
	v_bfe_i32 v12, v17, 0, 16
	v_cmp_le_i32_e64 s1, v16, v12
	s_or_b32 s18, s1, s18
	s_delay_alu instid0(SALU_CYCLE_1)
	s_and_not1_b32 exec_lo, exec_lo, s18
	s_cbranch_execz .LBB2_52
.LBB2_48:                               ;   Parent Loop BB2_3 Depth=1
                                        ;     Parent Loop BB2_10 Depth=2
                                        ; =>    This Inner Loop Header: Depth=3
	s_delay_alu instid0(VALU_DEP_1) | instskip(SKIP_1) | instid1(VALU_DEP_1)
	v_bfe_i32 v18, v17, 0, 16
	s_mov_b32 s20, exec_lo
	v_ashrrev_i32_e32 v19, 31, v18
	s_wait_dscnt 0x0
	s_delay_alu instid0(VALU_DEP_1)
	v_lshl_add_u64 v[12:13], v[18:19], 2, v[10:11]
	v_lshl_add_u32 v18, v18, 2, v21
	global_load_b32 v13, v[12:13], off
	s_wait_loadcnt 0x0
	s_wait_xcnt 0x0
	v_lshrrev_b32_e32 v12, 16, v13
	v_bfe_i32 v14, v13, 0, 16
	s_delay_alu instid0(VALU_DEP_2) | instskip(NEXT) | instid1(VALU_DEP_1)
	v_bfe_i32 v12, v12, 0, 16
	v_dual_ashrrev_i32 v15, 31, v14 :: v_dual_ashrrev_i32 v13, 31, v12
	s_delay_alu instid0(VALU_DEP_1) | instskip(NEXT) | instid1(VALU_DEP_2)
	v_lshl_add_u64 v[38:39], v[14:15], 2, v[6:7]
	v_lshl_add_u64 v[36:37], v[12:13], 2, v[6:7]
	s_clause 0x1
	global_load_b32 v19, v[36:37], off
	global_load_b32 v35, v[38:39], off
	ds_store_b32 v18, v31
	s_wait_loadcnt 0x0
	v_cmp_ne_u32_e64 s19, v19, v35
	s_wait_xcnt 0x0
	v_cmpx_eq_u32_e64 v19, v35
	s_cbranch_execz .LBB2_50
; %bb.49:                               ;   in Loop: Header=BB2_48 Depth=3
	v_lshl_add_u64 v[18:19], v[12:13], 2, v[8:9]
	v_lshl_add_u64 v[36:37], v[14:15], 2, v[8:9]
	s_and_not1_b32 s19, s19, exec_lo
	s_clause 0x1
	global_load_b32 v13, v[18:19], off
	global_load_b32 v15, v[36:37], off
	s_wait_loadcnt 0x0
	v_cmp_ne_u32_e64 s1, v13, v15
	s_and_b32 s1, s1, exec_lo
	s_delay_alu instid0(SALU_CYCLE_1)
	s_or_b32 s19, s19, s1
.LBB2_50:                               ;   in Loop: Header=BB2_48 Depth=3
	s_wait_xcnt 0x0
	s_or_b32 exec_lo, exec_lo, s20
	s_and_saveexec_b32 s1, s19
	s_cbranch_execz .LBB2_47
; %bb.51:                               ;   in Loop: Header=BB2_48 Depth=3
	v_lshl_add_u32 v13, v14, 2, v24
	ds_add_rtn_u32 v13, v13, v32
	s_wait_dscnt 0x0
	v_dual_lshlrev_b32 v14, 4, v14 :: v_dual_lshlrev_b32 v13, 1, v13
	s_delay_alu instid0(VALU_DEP_1)
	v_add3_u32 v13, v25, v14, v13
	v_lshl_add_u32 v14, v12, 2, v24
	ds_store_b16 v13, v17
	ds_add_rtn_u32 v13, v14, v32
	s_wait_dscnt 0x0
	v_dual_lshlrev_b32 v12, 4, v12 :: v_dual_lshlrev_b32 v13, 1, v13
	s_delay_alu instid0(VALU_DEP_1)
	v_add3_u32 v12, v25, v12, v13
	ds_store_b16 v12, v17
	s_branch .LBB2_47
.LBB2_52:                               ;   in Loop: Header=BB2_10 Depth=2
	s_or_b32 exec_lo, exec_lo, s2
	s_and_saveexec_b32 s1, vcc_lo
	s_cbranch_execz .LBB2_67
; %bb.53:                               ;   in Loop: Header=BB2_10 Depth=2
	v_mov_b32_e32 v12, v3
	s_mov_b32 s2, 0
	s_branch .LBB2_55
.LBB2_54:                               ;   in Loop: Header=BB2_55 Depth=3
	s_or_b32 exec_lo, exec_lo, s18
	v_add_nc_u16 v12, v12, 32
	s_delay_alu instid0(VALU_DEP_1) | instskip(SKIP_1) | instid1(SALU_CYCLE_1)
	v_cmp_ge_i16_e32 vcc_lo, v12, v34
	s_or_b32 s2, vcc_lo, s2
	s_and_not1_b32 exec_lo, exec_lo, s2
	s_cbranch_execz .LBB2_67
.LBB2_55:                               ;   Parent Loop BB2_3 Depth=1
                                        ;     Parent Loop BB2_10 Depth=2
                                        ; =>    This Loop Header: Depth=3
                                        ;         Child Loop BB2_58 Depth 4
                                        ;           Child Loop BB2_63 Depth 5
	s_delay_alu instid0(VALU_DEP_1) | instskip(SKIP_2) | instid1(VALU_DEP_1)
	v_bfe_i32 v12, v12, 0, 16
	s_mov_b32 s18, exec_lo
	s_wait_dscnt 0x0
	v_lshl_add_u32 v13, v12, 2, v24
	ds_load_b32 v35, v13
	s_wait_dscnt 0x0
	v_cmpx_lt_i32_e32 1, v35
	s_cbranch_execz .LBB2_54
; %bb.56:                               ;   in Loop: Header=BB2_55 Depth=3
	v_dual_ashrrev_i32 v13, 31, v12 :: v_dual_add_nc_u32 v38, -1, v35
	v_lshl_add_u32 v37, v12, 4, v25
	s_mov_b32 s19, 0
	s_mov_b32 s20, 0
	s_wait_loadcnt 0x0
	v_lshlrev_b64_e32 v[14:15], 2, v[12:13]
	s_delay_alu instid0(VALU_DEP_1)
	v_add_nc_u64_e32 v[16:17], v[6:7], v[14:15]
	v_add_nc_u64_e32 v[14:15], v[8:9], v[14:15]
	global_load_b32 v13, v[16:17], off
	global_load_b32 v36, v[14:15], off
	s_branch .LBB2_58
.LBB2_57:                               ;   in Loop: Header=BB2_58 Depth=4
	s_or_b32 exec_lo, exec_lo, s22
	v_cmp_ge_i32_e32 vcc_lo, s21, v38
	s_or_b32 s20, vcc_lo, s20
	s_delay_alu instid0(SALU_CYCLE_1)
	s_and_not1_b32 exec_lo, exec_lo, s20
	s_cbranch_execz .LBB2_54
.LBB2_58:                               ;   Parent Loop BB2_3 Depth=1
                                        ;     Parent Loop BB2_10 Depth=2
                                        ;       Parent Loop BB2_55 Depth=3
                                        ; =>      This Loop Header: Depth=4
                                        ;           Child Loop BB2_63 Depth 5
	s_sext_i32_i8 s21, s19
	s_wait_xcnt 0x0
	v_lshl_add_u32 v14, s21, 1, v37
	s_mov_b32 s21, exec_lo
	ds_load_u16 v14, v14
	s_wait_dscnt 0x0
	v_bfe_i32 v14, v14, 0, 16
	s_wait_loadcnt 0x0
	s_delay_alu instid0(VALU_DEP_1) | instskip(NEXT) | instid1(VALU_DEP_1)
	v_ashrrev_i32_e32 v15, 31, v14
	v_lshl_add_u64 v[16:17], v[14:15], 2, v[10:11]
	global_load_u16 v15, v[16:17], off
	s_wait_loadcnt 0x0
	s_wait_xcnt 0x0
	v_cmpx_eq_u16_e64 v12, v15
	s_cbranch_execz .LBB2_60
; %bb.59:                               ;   in Loop: Header=BB2_58 Depth=4
	global_load_u16 v15, v[16:17], off offset:2
.LBB2_60:                               ;   in Loop: Header=BB2_58 Depth=4
	s_wait_xcnt 0x0
	s_or_b32 exec_lo, exec_lo, s21
	s_add_co_i32 s19, s19, 1
	s_mov_b32 s22, exec_lo
	s_sext_i32_i8 s21, s19
	s_delay_alu instid0(SALU_CYCLE_1)
	v_cmpx_lt_i32_e64 s21, v35
	s_cbranch_execz .LBB2_57
; %bb.61:                               ;   in Loop: Header=BB2_58 Depth=4
	s_wait_loadcnt 0x0
	v_bfe_i32 v16, v15, 0, 16
	v_lshl_add_u32 v42, v14, 2, v21
	s_mov_b32 s23, 0
	s_mov_b32 s24, s19
	s_delay_alu instid0(VALU_DEP_2) | instskip(NEXT) | instid1(VALU_DEP_1)
	v_ashrrev_i32_e32 v17, 31, v16
	v_lshlrev_b64_e32 v[16:17], 2, v[16:17]
	s_delay_alu instid0(VALU_DEP_1)
	v_add_nc_u64_e32 v[18:19], v[6:7], v[16:17]
	v_add_nc_u64_e32 v[16:17], v[8:9], v[16:17]
	global_load_b32 v39, v[18:19], off
	global_load_b32 v41, v[16:17], off
	s_wait_loadcnt 0x1
	v_min_i32_e32 v15, v13, v39
	v_max_i32_e32 v39, v13, v39
	s_wait_loadcnt 0x0
	v_min_i32_e32 v40, v36, v41
	v_max_i32_e32 v41, v36, v41
	s_branch .LBB2_63
.LBB2_62:                               ;   in Loop: Header=BB2_63 Depth=5
	s_or_b32 exec_lo, exec_lo, s25
	s_add_co_i32 s24, s24, 1
	s_delay_alu instid0(SALU_CYCLE_1) | instskip(NEXT) | instid1(SALU_CYCLE_1)
	s_sext_i32_i8 s25, s24
	v_cmp_ge_i32_e32 vcc_lo, s25, v35
	s_or_b32 s23, vcc_lo, s23
	s_delay_alu instid0(SALU_CYCLE_1)
	s_and_not1_b32 exec_lo, exec_lo, s23
	s_cbranch_execz .LBB2_57
.LBB2_63:                               ;   Parent Loop BB2_3 Depth=1
                                        ;     Parent Loop BB2_10 Depth=2
                                        ;       Parent Loop BB2_55 Depth=3
                                        ;         Parent Loop BB2_58 Depth=4
                                        ; =>        This Inner Loop Header: Depth=5
	s_sext_i32_i8 s25, s24
	s_wait_xcnt 0x0
	v_lshl_add_u32 v16, s25, 1, v37
	s_mov_b32 s25, exec_lo
	ds_load_u16 v16, v16
	s_wait_dscnt 0x0
	v_bfe_i32 v16, v16, 0, 16
	s_delay_alu instid0(VALU_DEP_1) | instskip(NEXT) | instid1(VALU_DEP_1)
	v_ashrrev_i32_e32 v17, 31, v16
	v_lshl_add_u64 v[18:19], v[16:17], 2, v[10:11]
	global_load_u16 v17, v[18:19], off
	s_wait_loadcnt 0x0
	s_wait_xcnt 0x0
	v_cmpx_eq_u16_e64 v12, v17
	s_cbranch_execz .LBB2_65
; %bb.64:                               ;   in Loop: Header=BB2_63 Depth=5
	global_load_u16 v17, v[18:19], off offset:2
.LBB2_65:                               ;   in Loop: Header=BB2_63 Depth=5
	s_wait_xcnt 0x0
	s_or_b32 exec_lo, exec_lo, s25
	s_wait_loadcnt 0x0
	v_bfe_i32 v18, v17, 0, 16
	s_mov_b32 s25, exec_lo
	s_delay_alu instid0(VALU_DEP_1) | instskip(NEXT) | instid1(VALU_DEP_1)
	v_ashrrev_i32_e32 v19, 31, v18
	v_lshlrev_b64_e32 v[18:19], 2, v[18:19]
	s_delay_alu instid0(VALU_DEP_1)
	v_add_nc_u64_e32 v[44:45], v[6:7], v[18:19]
	v_add_nc_u64_e32 v[18:19], v[8:9], v[18:19]
	global_load_b32 v17, v[44:45], off
	global_load_b32 v43, v[18:19], off
	s_wait_loadcnt 0x1
	v_minmax_i32 v17, v39, v17, v15
	s_wait_loadcnt 0x0
	v_minmax_i32 v18, v41, v43, v40
	s_delay_alu instid0(VALU_DEP_1) | instskip(NEXT) | instid1(VALU_DEP_1)
	v_dual_sub_nc_u32 v17, v17, v13 :: v_dual_sub_nc_u32 v18, v18, v36
	v_dual_sub_nc_u32 v19, 0, v17 :: v_dual_sub_nc_u32 v43, 0, v18
	s_delay_alu instid0(VALU_DEP_1) | instskip(NEXT) | instid1(VALU_DEP_2)
	v_max_i32_e32 v17, v17, v19
	v_max_i32_e32 v18, v18, v43
	s_delay_alu instid0(VALU_DEP_1) | instskip(NEXT) | instid1(VALU_DEP_1)
	v_add_nc_u32_e32 v17, v18, v17
	v_cmpx_ne_u32_e32 0, v17
	s_cbranch_execz .LBB2_62
; %bb.66:                               ;   in Loop: Header=BB2_63 Depth=5
	v_lshlrev_b32_e32 v17, 9, v17
	v_lshl_add_u32 v18, v16, 2, v21
	s_delay_alu instid0(VALU_DEP_2)
	v_dual_add_nc_u32 v16, v17, v16 :: v_dual_add_nc_u32 v17, v17, v14
	ds_max_i32 v42, v16
	ds_max_i32 v18, v17
	s_branch .LBB2_62
.LBB2_67:                               ;   in Loop: Header=BB2_10 Depth=2
	s_or_b32 exec_lo, exec_lo, s1
	v_dual_add_nc_u32 v16, -2, v0 :: v_dual_mov_b32 v0, v34
	v_mov_b32_e32 v12, v3
	s_mov_b32 s1, 0
                                        ; implicit-def: $vgpr13
                                        ; implicit-def: $vgpr14
	s_branch .LBB2_70
.LBB2_68:                               ;   in Loop: Header=BB2_70 Depth=3
	s_wait_xcnt 0x0
	s_or_b32 exec_lo, exec_lo, s18
	s_bcnt1_i32_b32 s18, vcc_lo
	v_add_nc_u16 v12, v12, 32
	v_add_nc_u16 v0, v34, s18
	s_mov_b32 s18, 0
.LBB2_69:                               ;   in Loop: Header=BB2_70 Depth=3
	s_and_not1_b32 s19, s2, exec_lo
	s_and_b32 s1, s1, exec_lo
	s_and_b32 vcc_lo, exec_lo, s18
	s_or_b32 s1, s19, s1
	s_cbranch_vccnz .LBB2_9
.LBB2_70:                               ;   Parent Loop BB2_3 Depth=1
                                        ;     Parent Loop BB2_10 Depth=2
                                        ; =>    This Inner Loop Header: Depth=3
	s_delay_alu instid0(VALU_DEP_1) | instskip(SKIP_2) | instid1(VALU_DEP_2)
	v_bfe_i32 v12, v12, 0, 16
	v_mov_b32_e32 v34, v0
	s_mov_b32 s2, s1
	v_cmp_gt_i32_e32 vcc_lo, v16, v12
	s_cbranch_vccz .LBB2_83
; %bb.71:                               ;   in Loop: Header=BB2_70 Depth=3
	s_mov_b32 s19, 0
	s_mov_b32 s1, s2
	s_and_saveexec_b32 s18, vcc_lo
	s_cbranch_execz .LBB2_81
; %bb.72:                               ;   in Loop: Header=BB2_70 Depth=3
	v_lshl_add_u32 v0, v12, 2, v21
	s_mov_b32 s20, 0
	s_mov_b32 s21, s2
	s_wait_loadcnt 0x0
	ds_load_b32 v15, v0
	s_wait_dscnt 0x0
	v_and_b32_e32 v0, 0x1ff, v15
	v_cmp_lt_i32_e32 vcc_lo, 0, v15
	s_delay_alu instid0(VALU_DEP_2) | instskip(SKIP_1) | instid1(SALU_CYCLE_1)
	v_cmp_gt_i32_e64 s1, v0, v12
	s_and_b32 s1, vcc_lo, s1
	s_and_saveexec_b32 s19, s1
	s_cbranch_execz .LBB2_80
; %bb.73:                               ;   in Loop: Header=BB2_70 Depth=3
	v_lshl_add_u32 v15, v0, 2, v21
	s_mov_b32 s1, 0
	s_mov_b32 s21, s2
	s_mov_b32 s20, exec_lo
	ds_load_b32 v15, v15
	s_wait_dscnt 0x0
	v_ashrrev_i32_e32 v17, 31, v15
	s_delay_alu instid0(VALU_DEP_1) | instskip(NEXT) | instid1(VALU_DEP_1)
	v_lshrrev_b32_e32 v17, 23, v17
	v_add_nc_u32_e32 v17, v15, v17
	s_delay_alu instid0(VALU_DEP_1) | instskip(NEXT) | instid1(VALU_DEP_1)
	v_and_b32_e32 v17, 0xfffffe00, v17
	v_sub_nc_u32_e32 v15, v15, v17
	s_delay_alu instid0(VALU_DEP_1)
	v_cmpx_eq_u32_e64 v15, v12
	s_cbranch_execz .LBB2_79
; %bb.74:                               ;   in Loop: Header=BB2_70 Depth=3
	v_lshlrev_b32_e32 v0, 2, v0
	v_ashrrev_i32_e32 v13, 31, v12
	s_delay_alu instid0(VALU_DEP_2) | instskip(NEXT) | instid1(VALU_DEP_2)
	v_add_nc_u64_e32 v[14:15], v[10:11], v[0:1]
	v_lshl_add_u64 v[18:19], v[12:13], 2, v[10:11]
	s_clause 0x1
	global_load_b32 v0, v[18:19], off
	global_load_u16 v13, v[14:15], off
	s_wait_loadcnt 0x1
	s_wait_xcnt 0x1
	v_bfe_i32 v18, v0, 0, 16
	s_wait_loadcnt 0x0
	v_bfe_i32 v36, v13, 0, 16
	s_delay_alu instid0(VALU_DEP_2) | instskip(NEXT) | instid1(VALU_DEP_2)
	v_dual_lshrrev_b32 v0, 16, v0 :: v_dual_ashrrev_i32 v19, 31, v18
	v_ashrrev_i32_e32 v37, 31, v36
	s_delay_alu instid0(VALU_DEP_2) | instskip(NEXT) | instid1(VALU_DEP_3)
	v_bfe_i32 v38, v0, 0, 16
	v_lshlrev_b64_e32 v[18:19], 2, v[18:19]
	s_delay_alu instid0(VALU_DEP_3) | instskip(NEXT) | instid1(VALU_DEP_3)
	v_lshlrev_b64_e32 v[36:37], 2, v[36:37]
	v_ashrrev_i32_e32 v39, 31, v38
	s_delay_alu instid0(VALU_DEP_1) | instskip(NEXT) | instid1(VALU_DEP_4)
	v_lshlrev_b64_e32 v[38:39], 2, v[38:39]
	v_add_nc_u64_e32 v[40:41], v[6:7], v[18:19]
	v_add_nc_u64_e32 v[42:43], v[8:9], v[18:19]
	;; [unrolled: 1-line block ×4, first 2 shown]
	global_load_b32 v0, v[40:41], off
	global_load_b32 v17, v[42:43], off
	;; [unrolled: 1-line block ×4, first 2 shown]
	s_wait_xcnt 0x0
	v_add_nc_u64_e32 v[36:37], v[6:7], v[38:39]
	v_add_nc_u64_e32 v[38:39], v[8:9], v[38:39]
	global_load_b32 v13, v[36:37], off
	global_load_b32 v18, v[38:39], off
	s_wait_loadcnt 0x3
	v_cmp_eq_u32_e32 vcc_lo, v19, v0
	s_wait_loadcnt 0x2
	v_cmp_eq_u32_e64 s1, v35, v17
	s_and_b32 s21, vcc_lo, s1
	s_delay_alu instid0(SALU_CYCLE_1)
	s_xor_b32 s1, s21, -1
	s_wait_xcnt 0x0
	s_and_saveexec_b32 s22, s1
	s_cbranch_execz .LBB2_76
; %bb.75:                               ;   in Loop: Header=BB2_70 Depth=3
	s_wait_loadcnt 0x1
	v_cmp_eq_u32_e32 vcc_lo, v19, v13
	s_wait_loadcnt 0x0
	v_cmp_eq_u32_e64 s1, v35, v18
	s_and_not1_b32 s21, s21, exec_lo
	s_and_b32 s1, vcc_lo, s1
	s_delay_alu instid0(SALU_CYCLE_1) | instskip(NEXT) | instid1(SALU_CYCLE_1)
	s_and_b32 s1, s1, exec_lo
	s_or_b32 s21, s21, s1
.LBB2_76:                               ;   in Loop: Header=BB2_70 Depth=3
	s_or_b32 exec_lo, exec_lo, s22
	s_and_saveexec_b32 s1, s21
	s_cbranch_execz .LBB2_78
; %bb.77:                               ;   in Loop: Header=BB2_70 Depth=3
	global_load_u16 v14, v[14:15], off offset:2
	s_wait_loadcnt 0x0
	v_bfe_i32 v14, v14, 0, 16
	s_delay_alu instid0(VALU_DEP_1) | instskip(NEXT) | instid1(VALU_DEP_1)
	v_ashrrev_i32_e32 v15, 31, v14
	v_lshlrev_b64_e32 v[14:15], 2, v[14:15]
	s_delay_alu instid0(VALU_DEP_1)
	v_add_nc_u64_e32 v[36:37], v[6:7], v[14:15]
	v_add_nc_u64_e32 v[14:15], v[8:9], v[14:15]
	global_load_b32 v19, v[36:37], off
	global_load_b32 v35, v[14:15], off
.LBB2_78:                               ;   in Loop: Header=BB2_70 Depth=3
	s_wait_xcnt 0x0
	s_or_b32 exec_lo, exec_lo, s1
	s_wait_loadcnt 0x1
	v_med3_i32 v13, v0, v13, v19
	s_wait_loadcnt 0x0
	v_med3_i32 v14, v17, v18, v35
	s_mov_b32 s1, exec_lo
	s_or_b32 s21, s2, exec_lo
.LBB2_79:                               ;   in Loop: Header=BB2_70 Depth=3
	s_or_b32 exec_lo, exec_lo, s20
	s_delay_alu instid0(SALU_CYCLE_1) | instskip(SKIP_1) | instid1(SALU_CYCLE_1)
	s_and_not1_b32 s20, s2, exec_lo
	s_and_b32 s21, s21, exec_lo
	s_or_b32 s21, s20, s21
	s_and_b32 s20, s1, exec_lo
.LBB2_80:                               ;   in Loop: Header=BB2_70 Depth=3
	s_or_b32 exec_lo, exec_lo, s19
	s_delay_alu instid0(SALU_CYCLE_1)
	s_and_not1_b32 s1, s2, exec_lo
	s_and_b32 s21, s21, exec_lo
	s_and_b32 s19, s20, exec_lo
	s_or_b32 s1, s1, s21
.LBB2_81:                               ;   in Loop: Header=BB2_70 Depth=3
	s_or_b32 exec_lo, exec_lo, s18
	v_cndmask_b32_e64 v0, 0, 1, s19
	s_delay_alu instid0(VALU_DEP_1)
	v_cmp_ne_u32_e32 vcc_lo, 0, v0
	s_and_saveexec_b32 s18, s19
	s_cbranch_execz .LBB2_68
; %bb.82:                               ;   in Loop: Header=BB2_70 Depth=3
	v_and_b32_e32 v0, vcc_lo, v2
	v_bfe_i32 v18, v34, 0, 16
	s_delay_alu instid0(VALU_DEP_2) | instskip(NEXT) | instid1(VALU_DEP_2)
	v_bcnt_u32_b32 v0, v0, 0
	v_ashrrev_i32_e32 v19, 31, v18
	s_delay_alu instid0(VALU_DEP_1) | instskip(NEXT) | instid1(VALU_DEP_1)
	v_add_nc_u64_e32 v[18:19], v[0:1], v[18:19]
	v_lshlrev_b64_e32 v[18:19], 2, v[18:19]
	s_delay_alu instid0(VALU_DEP_1)
	v_add_nc_u64_e32 v[36:37], v[6:7], v[18:19]
	v_add_nc_u64_e32 v[18:19], v[8:9], v[18:19]
	s_wait_dscnt 0x0
	global_store_b32 v[36:37], v13, off
	global_store_b32 v[18:19], v14, off
	s_branch .LBB2_68
.LBB2_83:                               ;   in Loop: Header=BB2_70 Depth=3
	s_mov_b32 s18, -1
                                        ; implicit-def: $sgpr1
                                        ; implicit-def: $vgpr12
                                        ; implicit-def: $vgpr14
                                        ; implicit-def: $vgpr13
                                        ; implicit-def: $vgpr0
	s_branch .LBB2_69
.LBB2_84:
	s_endpgm
	.section	.rodata,"a",@progbits
	.p2align	6, 0x0
	.amdhsa_kernel _ZL14smallNetKernelILi3ELi512EEvPKiPiS2_P4edgeS2_
		.amdhsa_group_segment_fixed_size 43020
		.amdhsa_private_segment_fixed_size 0
		.amdhsa_kernarg_size 40
		.amdhsa_user_sgpr_count 2
		.amdhsa_user_sgpr_dispatch_ptr 0
		.amdhsa_user_sgpr_queue_ptr 0
		.amdhsa_user_sgpr_kernarg_segment_ptr 1
		.amdhsa_user_sgpr_dispatch_id 0
		.amdhsa_user_sgpr_kernarg_preload_length 0
		.amdhsa_user_sgpr_kernarg_preload_offset 0
		.amdhsa_user_sgpr_private_segment_size 0
		.amdhsa_wavefront_size32 1
		.amdhsa_uses_dynamic_stack 0
		.amdhsa_enable_private_segment 0
		.amdhsa_system_sgpr_workgroup_id_x 1
		.amdhsa_system_sgpr_workgroup_id_y 0
		.amdhsa_system_sgpr_workgroup_id_z 0
		.amdhsa_system_sgpr_workgroup_info 0
		.amdhsa_system_vgpr_workitem_id 0
		.amdhsa_next_free_vgpr 145
		.amdhsa_next_free_sgpr 26
		.amdhsa_named_barrier_count 0
		.amdhsa_reserve_vcc 1
		.amdhsa_float_round_mode_32 0
		.amdhsa_float_round_mode_16_64 0
		.amdhsa_float_denorm_mode_32 3
		.amdhsa_float_denorm_mode_16_64 3
		.amdhsa_fp16_overflow 0
		.amdhsa_memory_ordered 1
		.amdhsa_forward_progress 1
		.amdhsa_inst_pref_size 34
		.amdhsa_round_robin_scheduling 0
		.amdhsa_exception_fp_ieee_invalid_op 0
		.amdhsa_exception_fp_denorm_src 0
		.amdhsa_exception_fp_ieee_div_zero 0
		.amdhsa_exception_fp_ieee_overflow 0
		.amdhsa_exception_fp_ieee_underflow 0
		.amdhsa_exception_fp_ieee_inexact 0
		.amdhsa_exception_int_div_zero 0
	.end_amdhsa_kernel
	.section	.text._ZL14smallNetKernelILi3ELi512EEvPKiPiS2_P4edgeS2_,"axG",@progbits,_ZL14smallNetKernelILi3ELi512EEvPKiPiS2_P4edgeS2_,comdat
.Lfunc_end2:
	.size	_ZL14smallNetKernelILi3ELi512EEvPKiPiS2_P4edgeS2_, .Lfunc_end2-_ZL14smallNetKernelILi3ELi512EEvPKiPiS2_P4edgeS2_
                                        ; -- End function
	.set _ZL14smallNetKernelILi3ELi512EEvPKiPiS2_P4edgeS2_.num_vgpr, 46
	.set _ZL14smallNetKernelILi3ELi512EEvPKiPiS2_P4edgeS2_.num_agpr, 0
	.set _ZL14smallNetKernelILi3ELi512EEvPKiPiS2_P4edgeS2_.numbered_sgpr, 26
	.set _ZL14smallNetKernelILi3ELi512EEvPKiPiS2_P4edgeS2_.num_named_barrier, 0
	.set _ZL14smallNetKernelILi3ELi512EEvPKiPiS2_P4edgeS2_.private_seg_size, 0
	.set _ZL14smallNetKernelILi3ELi512EEvPKiPiS2_P4edgeS2_.uses_vcc, 1
	.set _ZL14smallNetKernelILi3ELi512EEvPKiPiS2_P4edgeS2_.uses_flat_scratch, 0
	.set _ZL14smallNetKernelILi3ELi512EEvPKiPiS2_P4edgeS2_.has_dyn_sized_stack, 0
	.set _ZL14smallNetKernelILi3ELi512EEvPKiPiS2_P4edgeS2_.has_recursion, 0
	.set _ZL14smallNetKernelILi3ELi512EEvPKiPiS2_P4edgeS2_.has_indirect_call, 0
	.section	.AMDGPU.csdata,"",@progbits
; Kernel info:
; codeLenInByte = 4344
; TotalNumSgprs: 28
; NumVgprs: 46
; ScratchSize: 0
; MemoryBound: 0
; FloatMode: 240
; IeeeMode: 1
; LDSByteSize: 43020 bytes/workgroup (compile time only)
; SGPRBlocks: 0
; VGPRBlocks: 9
; NumSGPRsForWavesPerEU: 28
; NumVGPRsForWavesPerEU: 145
; NamedBarCnt: 0
; Occupancy: 6
; WaveLimiterHint : 1
; COMPUTE_PGM_RSRC2:SCRATCH_EN: 0
; COMPUTE_PGM_RSRC2:USER_SGPR: 2
; COMPUTE_PGM_RSRC2:TRAP_HANDLER: 0
; COMPUTE_PGM_RSRC2:TGID_X_EN: 1
; COMPUTE_PGM_RSRC2:TGID_Y_EN: 0
; COMPUTE_PGM_RSRC2:TGID_Z_EN: 0
; COMPUTE_PGM_RSRC2:TIDIG_COMP_CNT: 0
	.section	.AMDGPU.gpr_maximums,"",@progbits
	.set amdgpu.max_num_vgpr, 0
	.set amdgpu.max_num_agpr, 0
	.set amdgpu.max_num_sgpr, 0
	.section	.AMDGPU.csdata,"",@progbits
	.type	_ZL8currpos1,@object            ; @_ZL8currpos1
	.local	_ZL8currpos1
	.comm	_ZL8currpos1,4,2
	.type	_ZL6wlsize,@object              ; @_ZL6wlsize
	.local	_ZL6wlsize
	.comm	_ZL6wlsize,4,2
	.type	_ZL8currpos2,@object            ; @_ZL8currpos2
	.local	_ZL8currpos2
	.comm	_ZL8currpos2,4,2
	.type	__hip_cuid_ec9452cb0c27213c,@object ; @__hip_cuid_ec9452cb0c27213c
	.section	.bss,"aw",@nobits
	.globl	__hip_cuid_ec9452cb0c27213c
__hip_cuid_ec9452cb0c27213c:
	.byte	0                               ; 0x0
	.size	__hip_cuid_ec9452cb0c27213c, 1

	.ident	"AMD clang version 22.0.0git (https://github.com/RadeonOpenCompute/llvm-project roc-7.2.4 26084 f58b06dce1f9c15707c5f808fd002e18c2accf7e)"
	.section	".note.GNU-stack","",@progbits
	.addrsig
	.addrsig_sym _ZL8currpos1
	.addrsig_sym _ZL6wlsize
	.addrsig_sym _ZL8currpos2
	.addrsig_sym __hip_cuid_ec9452cb0c27213c
	.amdgpu_metadata
---
amdhsa.kernels:
  - .args:
      - .actual_access:  read_only
        .address_space:  global
        .offset:         0
        .size:           8
        .value_kind:     global_buffer
      - .actual_access:  read_only
        .address_space:  global
        .offset:         8
        .size:           8
        .value_kind:     global_buffer
      - .actual_access:  read_only
        .address_space:  global
        .offset:         16
        .size:           8
        .value_kind:     global_buffer
      - .actual_access:  write_only
        .address_space:  global
        .offset:         24
        .size:           8
        .value_kind:     global_buffer
      - .address_space:  global
        .offset:         32
        .size:           8
        .value_kind:     global_buffer
      - .address_space:  global
        .offset:         40
        .size:           8
        .value_kind:     global_buffer
      - .address_space:  global
        .offset:         48
        .size:           8
        .value_kind:     global_buffer
      - .offset:         56
        .size:           4
        .value_kind:     by_value
      - .actual_access:  write_only
        .address_space:  global
        .offset:         64
        .size:           8
        .value_kind:     global_buffer
    .group_segment_fixed_size: 21552
    .kernarg_segment_align: 8
    .kernarg_segment_size: 72
    .language:       OpenCL C
    .language_version:
      - 2
      - 0
    .max_flat_workgroup_size: 384
    .name:           _ZL14largeNetKernelILi12ELi64EEvPKiS1_S1_PiS2_S2_P4edgeiS2_
    .private_segment_fixed_size: 0
    .sgpr_count:     41
    .sgpr_spill_count: 0
    .symbol:         _ZL14largeNetKernelILi12ELi64EEvPKiS1_S1_PiS2_S2_P4edgeiS2_.kd
    .uniform_work_group_size: 1
    .uses_dynamic_stack: false
    .vgpr_count:     52
    .vgpr_spill_count: 0
    .wavefront_size: 32
  - .args:
      - .actual_access:  read_only
        .address_space:  global
        .offset:         0
        .size:           8
        .value_kind:     global_buffer
      - .actual_access:  read_only
        .address_space:  global
        .offset:         8
        .size:           8
        .value_kind:     global_buffer
      - .actual_access:  read_only
        .address_space:  global
        .offset:         16
        .size:           8
        .value_kind:     global_buffer
      - .actual_access:  write_only
        .address_space:  global
        .offset:         24
        .size:           8
        .value_kind:     global_buffer
      - .address_space:  global
        .offset:         32
        .size:           8
        .value_kind:     global_buffer
      - .address_space:  global
        .offset:         40
        .size:           8
        .value_kind:     global_buffer
      - .address_space:  global
        .offset:         48
        .size:           8
        .value_kind:     global_buffer
      - .offset:         56
        .size:           4
        .value_kind:     by_value
      - .actual_access:  write_only
        .address_space:  global
        .offset:         64
        .size:           8
        .value_kind:     global_buffer
    .group_segment_fixed_size: 43104
    .kernarg_segment_align: 8
    .kernarg_segment_size: 72
    .language:       OpenCL C
    .language_version:
      - 2
      - 0
    .max_flat_workgroup_size: 768
    .name:           _ZL14largeNetKernelILi24ELi64EEvPKiS1_S1_PiS2_S2_P4edgeiS2_
    .private_segment_fixed_size: 0
    .sgpr_count:     41
    .sgpr_spill_count: 0
    .symbol:         _ZL14largeNetKernelILi24ELi64EEvPKiS1_S1_PiS2_S2_P4edgeiS2_.kd
    .uniform_work_group_size: 1
    .uses_dynamic_stack: false
    .vgpr_count:     52
    .vgpr_spill_count: 0
    .wavefront_size: 32
  - .args:
      - .actual_access:  read_only
        .address_space:  global
        .offset:         0
        .size:           8
        .value_kind:     global_buffer
      - .address_space:  global
        .offset:         8
        .size:           8
        .value_kind:     global_buffer
      - .address_space:  global
        .offset:         16
        .size:           8
        .value_kind:     global_buffer
      - .address_space:  global
        .offset:         24
        .size:           8
        .value_kind:     global_buffer
      - .actual_access:  read_only
        .address_space:  global
        .offset:         32
        .size:           8
        .value_kind:     global_buffer
    .group_segment_fixed_size: 43020
    .kernarg_segment_align: 8
    .kernarg_segment_size: 40
    .language:       OpenCL C
    .language_version:
      - 2
      - 0
    .max_flat_workgroup_size: 96
    .name:           _ZL14smallNetKernelILi3ELi512EEvPKiPiS2_P4edgeS2_
    .private_segment_fixed_size: 0
    .sgpr_count:     28
    .sgpr_spill_count: 0
    .symbol:         _ZL14smallNetKernelILi3ELi512EEvPKiPiS2_P4edgeS2_.kd
    .uniform_work_group_size: 1
    .uses_dynamic_stack: false
    .vgpr_count:     46
    .vgpr_spill_count: 0
    .wavefront_size: 32
amdhsa.target:   amdgcn-amd-amdhsa--gfx1250
amdhsa.version:
  - 1
  - 2
...

	.end_amdgpu_metadata
